;; amdgpu-corpus repo=ROCm/rocFFT kind=compiled arch=gfx1030 opt=O3
	.text
	.amdgcn_target "amdgcn-amd-amdhsa--gfx1030"
	.amdhsa_code_object_version 6
	.protected	bluestein_single_back_len676_dim1_sp_op_CI_CI ; -- Begin function bluestein_single_back_len676_dim1_sp_op_CI_CI
	.globl	bluestein_single_back_len676_dim1_sp_op_CI_CI
	.p2align	8
	.type	bluestein_single_back_len676_dim1_sp_op_CI_CI,@function
bluestein_single_back_len676_dim1_sp_op_CI_CI: ; @bluestein_single_back_len676_dim1_sp_op_CI_CI
; %bb.0:
	s_load_dwordx4 s[12:15], s[4:5], 0x28
	v_mul_u32_u24_e32 v1, 0x4ed, v0
	v_mov_b32_e32 v73, 0
	s_mov_b32 s0, exec_lo
	v_lshrrev_b32_e32 v1, 16, v1
	v_add_nc_u32_e32 v72, s6, v1
	s_waitcnt lgkmcnt(0)
	v_cmpx_gt_u64_e64 s[12:13], v[72:73]
	s_cbranch_execz .LBB0_10
; %bb.1:
	s_clause 0x1
	s_load_dwordx4 s[8:11], s[4:5], 0x18
	s_load_dwordx4 s[0:3], s[4:5], 0x0
	v_mul_lo_u16 v1, v1, 52
	s_load_dwordx2 s[4:5], s[4:5], 0x38
	v_sub_nc_u16 v28, v0, v1
	v_and_b32_e32 v110, 0xffff, v28
	v_lshlrev_b32_e32 v109, 3, v110
	s_waitcnt lgkmcnt(0)
	s_load_dwordx4 s[16:19], s[8:9], 0x0
	s_clause 0x3
	global_load_dwordx2 v[91:92], v109, s[0:1]
	global_load_dwordx2 v[93:94], v109, s[0:1] offset:416
	global_load_dwordx2 v[89:90], v109, s[0:1] offset:832
	global_load_dwordx2 v[85:86], v109, s[0:1] offset:1248
	v_add_co_u32 v111, s6, s0, v109
	v_add_co_ci_u32_e64 v112, null, s1, 0, s6
	global_load_dwordx2 v[87:88], v109, s[0:1] offset:1664
	v_add_nc_u32_e32 v114, 0x400, v109
	v_add_nc_u32_e32 v30, 0x800, v109
	;; [unrolled: 1-line block ×3, first 2 shown]
	s_waitcnt lgkmcnt(0)
	v_mad_u64_u32 v[0:1], null, s18, v72, 0
	v_mad_u64_u32 v[2:3], null, s16, v110, 0
	s_mul_i32 s0, s17, 0x1a0
	s_mul_hi_u32 s1, s16, 0x1a0
	s_mul_i32 s6, s16, 0x1a0
	s_add_i32 s1, s1, s0
	v_mad_u64_u32 v[4:5], null, s19, v72, v[1:2]
	v_mad_u64_u32 v[5:6], null, s17, v110, v[3:4]
	v_mov_b32_e32 v1, v4
	v_add_co_u32 v6, vcc_lo, 0x800, v111
	v_add_co_ci_u32_e32 v7, vcc_lo, 0, v112, vcc_lo
	v_lshlrev_b64 v[0:1], 3, v[0:1]
	v_mov_b32_e32 v3, v5
	v_add_co_u32 v99, vcc_lo, 0x1000, v111
	v_add_co_ci_u32_e32 v100, vcc_lo, 0, v112, vcc_lo
	v_lshlrev_b64 v[2:3], 3, v[2:3]
	v_add_co_u32 v0, vcc_lo, s14, v0
	v_add_co_ci_u32_e32 v1, vcc_lo, s15, v1, vcc_lo
	s_clause 0x3
	global_load_dwordx2 v[97:98], v[6:7], off offset:32
	global_load_dwordx2 v[95:96], v[6:7], off offset:448
	;; [unrolled: 1-line block ×4, first 2 shown]
	v_add_co_u32 v0, vcc_lo, v0, v2
	v_add_co_ci_u32_e32 v1, vcc_lo, v1, v3, vcc_lo
	s_clause 0x1
	global_load_dwordx2 v[77:78], v[6:7], off offset:1696
	global_load_dwordx2 v[73:74], v[99:100], off offset:64
	v_add_co_u32 v2, vcc_lo, v0, s6
	v_add_co_ci_u32_e32 v3, vcc_lo, s1, v1, vcc_lo
	global_load_dwordx2 v[0:1], v[0:1], off
	v_add_co_u32 v4, vcc_lo, v2, s6
	v_add_co_ci_u32_e32 v5, vcc_lo, s1, v3, vcc_lo
	v_add_co_u32 v6, vcc_lo, v4, s6
	v_add_co_ci_u32_e32 v7, vcc_lo, s1, v5, vcc_lo
	v_add_co_u32 v8, vcc_lo, v6, s6
	v_add_co_ci_u32_e32 v9, vcc_lo, s1, v7, vcc_lo
	s_clause 0x2
	global_load_dwordx2 v[2:3], v[2:3], off
	global_load_dwordx2 v[4:5], v[4:5], off
	;; [unrolled: 1-line block ×3, first 2 shown]
	v_add_co_u32 v10, vcc_lo, v8, s6
	v_add_co_ci_u32_e32 v11, vcc_lo, s1, v9, vcc_lo
	global_load_dwordx2 v[8:9], v[8:9], off
	v_add_co_u32 v12, vcc_lo, v10, s6
	v_add_co_ci_u32_e32 v13, vcc_lo, s1, v11, vcc_lo
	global_load_dwordx2 v[10:11], v[10:11], off
	;; [unrolled: 3-line block ×8, first 2 shown]
	s_clause 0x1
	global_load_dwordx2 v[81:82], v[99:100], off offset:480
	global_load_dwordx2 v[83:84], v[99:100], off offset:896
	global_load_dwordx2 v[24:25], v[24:25], off
	s_load_dwordx4 s[8:11], s[10:11], 0x0
	v_cmp_gt_u16_e32 vcc_lo, 13, v28
	s_waitcnt vmcnt(14)
	v_mul_f32_e32 v26, v1, v92
	v_mul_f32_e32 v27, v0, v92
	v_fmac_f32_e32 v26, v0, v91
	v_fma_f32 v27, v1, v91, -v27
	s_waitcnt vmcnt(13)
	v_mul_f32_e32 v31, v3, v94
	v_mul_f32_e32 v1, v2, v94
	s_waitcnt vmcnt(12)
	v_mul_f32_e32 v0, v5, v90
	v_mul_f32_e32 v33, v4, v90
	s_waitcnt vmcnt(11)
	v_mul_f32_e32 v34, v6, v86
	v_fmac_f32_e32 v31, v2, v93
	v_mul_f32_e32 v2, v7, v86
	v_fma_f32 v32, v3, v93, -v1
	v_fmac_f32_e32 v0, v4, v89
	v_fma_f32 v1, v5, v89, -v33
	v_fma_f32 v3, v7, v85, -v34
	v_fmac_f32_e32 v2, v6, v85
	s_waitcnt vmcnt(10)
	v_mul_f32_e32 v5, v8, v88
	v_mul_f32_e32 v4, v9, v88
	ds_write2_b64 v109, v[26:27], v[31:32] offset1:52
	s_waitcnt vmcnt(9)
	v_mul_f32_e32 v6, v11, v98
	ds_write2_b64 v109, v[0:1], v[2:3] offset0:104 offset1:156
	v_fma_f32 v5, v9, v87, -v5
	v_mul_f32_e32 v1, v10, v98
	s_waitcnt vmcnt(8)
	v_mul_f32_e32 v3, v12, v96
	v_mul_f32_e32 v0, v13, v96
	v_fmac_f32_e32 v4, v8, v87
	s_waitcnt vmcnt(7)
	v_mul_f32_e32 v9, v14, v80
	v_mul_f32_e32 v2, v15, v80
	v_fma_f32 v7, v11, v97, -v1
	v_fma_f32 v1, v13, v95, -v3
	v_fmac_f32_e32 v6, v10, v97
	s_waitcnt vmcnt(6)
	v_mul_f32_e32 v8, v17, v76
	v_fma_f32 v3, v15, v79, -v9
	v_mul_f32_e32 v9, v16, v76
	v_fmac_f32_e32 v0, v12, v95
	v_fmac_f32_e32 v2, v14, v79
	s_waitcnt vmcnt(5)
	v_mul_f32_e32 v10, v19, v78
	v_mul_f32_e32 v11, v18, v78
	v_fmac_f32_e32 v8, v16, v75
	v_fma_f32 v9, v17, v75, -v9
	s_waitcnt vmcnt(4)
	v_mul_f32_e32 v12, v21, v74
	v_mul_f32_e32 v13, v20, v74
	v_fmac_f32_e32 v10, v18, v77
	s_waitcnt vmcnt(2)
	v_mul_f32_e32 v14, v23, v82
	v_mul_f32_e32 v15, v22, v82
	s_waitcnt vmcnt(0)
	v_mul_f32_e32 v16, v25, v84
	v_mul_f32_e32 v17, v24, v84
	v_fma_f32 v11, v19, v77, -v11
	v_fmac_f32_e32 v12, v20, v73
	v_fma_f32 v13, v21, v73, -v13
	v_fmac_f32_e32 v14, v22, v81
	;; [unrolled: 2-line block ×3, first 2 shown]
	v_fma_f32 v17, v25, v83, -v17
	ds_write2_b64 v114, v[4:5], v[6:7] offset0:80 offset1:132
	ds_write2_b64 v30, v[0:1], v[2:3] offset0:56 offset1:108
	;; [unrolled: 1-line block ×4, first 2 shown]
	ds_write_b64 v109, v[16:17] offset:4992
	s_waitcnt lgkmcnt(0)
	s_barrier
	buffer_gl0_inv
	ds_read2_b64 v[0:3], v109 offset1:52
	ds_read_b64 v[24:25], v109 offset:4992
	ds_read2_b64 v[8:11], v114 offset0:80 offset1:132
	ds_read2_b64 v[4:7], v30 offset0:160 offset1:212
	ds_read2_b64 v[16:19], v109 offset0:104 offset1:156
	ds_read2_b64 v[12:15], v29 offset0:8 offset1:60
	ds_read2_b64 v[20:23], v30 offset0:56 offset1:108
	s_waitcnt lgkmcnt(0)
	s_barrier
	buffer_gl0_inv
	v_add_f32_e32 v31, v0, v2
	v_add_f32_e32 v34, v1, v3
	v_sub_f32_e32 v33, v2, v24
	v_add_f32_e32 v37, v6, v8
	v_sub_f32_e32 v39, v8, v6
	;; [unrolled: 2-line block ×3, first 2 shown]
	v_add_f32_e32 v16, v31, v16
	v_add_f32_e32 v46, v15, v17
	v_sub_f32_e32 v48, v17, v15
	v_add_f32_e32 v17, v34, v17
	v_sub_f32_e32 v32, v3, v25
	v_add_f32_e32 v16, v16, v18
	v_add_f32_e32 v36, v25, v3
	v_mul_f32_e32 v54, 0xbeedf032, v33
	v_add_f32_e32 v17, v17, v19
	v_add_f32_e32 v35, v24, v2
	v_add_f32_e32 v8, v16, v8
	v_add_f32_e32 v38, v7, v9
	v_sub_f32_e32 v40, v9, v7
	v_sub_f32_e32 v51, v18, v12
	;; [unrolled: 1-line block ×3, first 2 shown]
	v_add_f32_e32 v8, v8, v10
	v_mul_f32_e32 v53, 0xbeedf032, v32
	v_mul_f32_e32 v55, 0xbf52af12, v32
	;; [unrolled: 1-line block ×18, first 2 shown]
	v_fmamk_f32 v139, v36, 0x3f62ad3f, v54
	v_add_f32_e32 v9, v17, v9
	v_add_f32_e32 v8, v8, v20
	;; [unrolled: 1-line block ×4, first 2 shown]
	v_mul_f32_e32 v67, 0xbf6f5d39, v47
	v_mul_f32_e32 v68, 0xbe750f2a, v47
	;; [unrolled: 1-line block ×12, first 2 shown]
	v_fma_f32 v138, 0x3f62ad3f, v35, -v53
	v_fmac_f32_e32 v53, 0x3f62ad3f, v35
	v_fma_f32 v54, 0x3f62ad3f, v36, -v54
	v_fma_f32 v140, 0x3f116cb1, v35, -v55
	v_fmamk_f32 v141, v36, 0x3f116cb1, v56
	v_fmac_f32_e32 v55, 0x3f116cb1, v35
	v_fma_f32 v56, 0x3f116cb1, v36, -v56
	v_fma_f32 v142, 0x3df6dbef, v35, -v57
	v_fmamk_f32 v143, v36, 0x3df6dbef, v58
	;; [unrolled: 4-line block ×5, first 2 shown]
	v_fmac_f32_e32 v32, 0xbf788fa5, v35
	v_fma_f32 v33, 0xbf788fa5, v36, -v33
	v_fma_f32 v18, 0x3f116cb1, v45, -v31
	v_fmac_f32_e32 v31, 0x3f116cb1, v45
	v_fma_f32 v19, 0xbeb58ec6, v45, -v34
	v_fmac_f32_e32 v34, 0xbeb58ec6, v45
	;; [unrolled: 2-line block ×6, first 2 shown]
	v_fmamk_f32 v45, v46, 0x3f116cb1, v66
	v_add_f32_e32 v139, v1, v139
	v_add_f32_e32 v9, v9, v11
	;; [unrolled: 1-line block ×5, first 2 shown]
	v_sub_f32_e32 v43, v10, v4
	v_sub_f32_e32 v44, v11, v5
	v_mul_f32_e32 v106, 0xbe750f2a, v51
	v_mul_f32_e32 v107, 0x3f6f5d39, v51
	;; [unrolled: 1-line block ×12, first 2 shown]
	v_fma_f32 v66, 0x3f116cb1, v46, -v66
	v_fmamk_f32 v152, v46, 0xbeb58ec6, v67
	v_fma_f32 v67, 0xbeb58ec6, v46, -v67
	v_fmamk_f32 v153, v46, 0xbf788fa5, v68
	;; [unrolled: 2-line block ×5, first 2 shown]
	v_fma_f32 v46, 0x3f62ad3f, v46, -v47
	v_fma_f32 v47, 0x3df6dbef, v49, -v71
	v_fmac_f32_e32 v71, 0x3df6dbef, v49
	v_fma_f32 v157, 0xbf788fa5, v49, -v101
	v_fmac_f32_e32 v101, 0xbf788fa5, v49
	;; [unrolled: 2-line block ×6, first 2 shown]
	v_fmamk_f32 v49, v50, 0x3df6dbef, v105
	v_add_f32_e32 v138, v0, v138
	v_add_f32_e32 v53, v0, v53
	;; [unrolled: 1-line block ×16, first 2 shown]
	v_sub_f32_e32 v26, v20, v22
	v_mul_f32_e32 v121, 0x3f29c268, v39
	v_mul_f32_e32 v122, 0x3eedf032, v39
	v_mul_f32_e32 v123, 0xbf7e222b, v39
	v_mul_f32_e32 v124, 0x3e750f2a, v39
	v_mul_f32_e32 v39, 0x3f52af12, v39
	v_mul_f32_e32 v125, 0xbf29c268, v44
	v_mul_f32_e32 v126, 0x3f7e222b, v44
	v_mul_f32_e32 v127, 0xbf52af12, v44
	v_mul_f32_e32 v128, 0x3e750f2a, v44
	v_mul_f32_e32 v129, 0x3eedf032, v44
	v_mul_f32_e32 v44, 0xbf6f5d39, v44
	v_mul_f32_e32 v130, 0xbf29c268, v43
	v_fma_f32 v105, 0x3df6dbef, v50, -v105
	v_fmamk_f32 v162, v50, 0xbf788fa5, v106
	v_fma_f32 v106, 0xbf788fa5, v50, -v106
	v_fmamk_f32 v163, v50, 0xbeb58ec6, v107
	;; [unrolled: 2-line block ×5, first 2 shown]
	v_fma_f32 v50, 0xbf3f9e67, v50, -v51
	v_fma_f32 v51, 0xbeb58ec6, v37, -v115
	v_fmac_f32_e32 v115, 0xbeb58ec6, v37
	v_fma_f32 v167, 0xbf3f9e67, v37, -v116
	v_fmac_f32_e32 v116, 0xbf3f9e67, v37
	;; [unrolled: 2-line block ×6, first 2 shown]
	v_fmamk_f32 v37, v38, 0xbeb58ec6, v120
	v_add_f32_e32 v140, v0, v140
	v_add_f32_e32 v55, v0, v55
	;; [unrolled: 1-line block ×20, first 2 shown]
	v_sub_f32_e32 v27, v21, v23
	v_mul_f32_e32 v131, 0x3f7e222b, v43
	v_mul_f32_e32 v132, 0xbf52af12, v43
	;; [unrolled: 1-line block ×6, first 2 shown]
	v_fma_f32 v120, 0xbeb58ec6, v38, -v120
	v_fmamk_f32 v172, v38, 0xbf3f9e67, v121
	v_fma_f32 v121, 0xbf3f9e67, v38, -v121
	v_fmamk_f32 v173, v38, 0x3f62ad3f, v122
	;; [unrolled: 2-line block ×5, first 2 shown]
	v_fma_f32 v38, 0x3f116cb1, v38, -v39
	v_fma_f32 v39, 0xbf3f9e67, v41, -v125
	v_fmac_f32_e32 v125, 0xbf3f9e67, v41
	v_fma_f32 v177, 0x3df6dbef, v41, -v126
	v_fmac_f32_e32 v126, 0x3df6dbef, v41
	;; [unrolled: 2-line block ×6, first 2 shown]
	v_fmamk_f32 v41, v42, 0xbf3f9e67, v130
	v_add_f32_e32 v19, v19, v140
	v_add_f32_e32 v32, v34, v55
	;; [unrolled: 1-line block ×15, first 2 shown]
	v_mul_f32_e32 v135, 0xbe750f2a, v27
	v_fma_f32 v130, 0xbf3f9e67, v42, -v130
	v_fmamk_f32 v182, v42, 0x3df6dbef, v131
	v_fma_f32 v131, 0x3df6dbef, v42, -v131
	v_fmamk_f32 v183, v42, 0x3f116cb1, v132
	;; [unrolled: 2-line block ×6, first 2 shown]
	v_add_f32_e32 v45, v63, v57
	v_add_f32_e32 v36, v36, v144
	;; [unrolled: 1-line block ×17, first 2 shown]
	v_mul_f32_e32 v12, 0x3eedf032, v26
	v_mul_f32_e32 v137, 0x3eedf032, v27
	v_fma_f32 v43, 0xbf788fa5, v3, -v135
	v_add_f32_e32 v54, v154, v145
	v_add_f32_e32 v55, v64, v59
	;; [unrolled: 1-line block ×20, first 2 shown]
	v_fmamk_f32 v9, v2, 0x3f62ad3f, v12
	v_mul_f32_e32 v13, 0xbf29c268, v26
	v_and_b32_e32 v24, 0xff, v28
	v_fmac_f32_e32 v135, 0xbf788fa5, v3
	v_fma_f32 v136, 0xbf788fa5, v2, -v136
	v_add_f32_e32 v45, v164, v54
	v_add_f32_e32 v46, v103, v55
	;; [unrolled: 1-line block ×15, first 2 shown]
	v_fma_f32 v8, 0x3f62ad3f, v3, -v137
	v_fmac_f32_e32 v137, 0x3f62ad3f, v3
	v_add_f32_e32 v9, v9, v18
	v_mul_f32_e32 v18, 0x3f52af12, v27
	v_fmamk_f32 v15, v2, 0xbf3f9e67, v13
	v_fma_f32 v16, 0xbf3f9e67, v2, -v13
	v_mul_lo_u16 v24, 0x4f, v24
	v_add_f32_e32 v35, v174, v45
	v_add_f32_e32 v36, v118, v46
	;; [unrolled: 1-line block ×7, first 2 shown]
	v_mul_f32_e32 v14, 0xbf29c268, v27
	v_add_f32_e32 v8, v8, v17
	v_fma_f32 v11, 0x3f62ad3f, v2, -v12
	v_add_f32_e32 v10, v137, v19
	v_fma_f32 v17, 0x3f116cb1, v3, -v18
	v_mul_f32_e32 v19, 0x3f52af12, v26
	v_add_f32_e32 v13, v15, v22
	v_add_f32_e32 v15, v16, v31
	v_mul_f32_e32 v22, 0xbf6f5d39, v27
	v_mul_f32_e32 v27, 0x3f7e222b, v27
	v_lshrrev_b16 v31, 10, v24
	v_add_f32_e32 v58, v155, v147
	v_add_f32_e32 v59, v65, v61
	;; [unrolled: 1-line block ×8, first 2 shown]
	v_fma_f32 v12, 0xbf3f9e67, v3, -v14
	v_add_f32_e32 v11, v11, v20
	v_fmac_f32_e32 v14, 0xbf3f9e67, v3
	v_add_f32_e32 v16, v17, v32
	v_fmamk_f32 v17, v2, 0x3f116cb1, v19
	v_fmac_f32_e32 v18, 0x3f116cb1, v3
	v_fma_f32 v20, 0xbeb58ec6, v3, -v22
	v_fmac_f32_e32 v22, 0xbeb58ec6, v3
	v_fma_f32 v25, 0x3df6dbef, v3, -v27
	v_fmac_f32_e32 v27, 0x3df6dbef, v3
	v_mul_lo_u16 v3, v31, 13
	v_add_f32_e32 v49, v165, v58
	v_add_f32_e32 v55, v161, v61
	;; [unrolled: 1-line block ×7, first 2 shown]
	v_mul_lo_u16 v32, v28, 13
	v_mov_b32_e32 v33, 3
	v_sub_nc_u16 v34, v28, v3
	v_add_f32_e32 v46, v175, v49
	v_add_f32_e32 v49, v171, v55
	;; [unrolled: 1-line block ×7, first 2 shown]
	v_mul_f32_e32 v23, 0xbf6f5d39, v26
	v_lshlrev_b32_sdwa v115, v33, v32 dst_sel:DWORD dst_unused:UNUSED_PAD src0_sel:DWORD src1_sel:WORD_0
	v_and_b32_e32 v32, 0xff, v34
	v_add_f32_e32 v40, v181, v49
	v_add_f32_e32 v12, v12, v21
	v_mul_f32_e32 v26, 0x3f7e222b, v26
	v_add_f32_e32 v47, v119, v53
	v_add_f32_e32 v48, v124, v54
	;; [unrolled: 1-line block ×5, first 2 shown]
	v_fmamk_f32 v21, v2, 0xbeb58ec6, v23
	ds_write2_b64 v115, v[4:5], v[0:1] offset1:1
	ds_write2_b64 v115, v[8:9], v[12:13] offset0:2 offset1:3
	v_mul_u32_u24_e32 v0, 12, v32
	v_add_f32_e32 v24, v25, v40
	v_fmamk_f32 v25, v2, 0x3df6dbef, v26
	v_fma_f32 v26, 0x3df6dbef, v2, -v26
	v_add_f32_e32 v38, v129, v47
	v_add_f32_e32 v39, v134, v48
	v_fma_f32 v19, 0x3f116cb1, v2, -v19
	v_fma_f32 v23, 0xbeb58ec6, v2, -v23
	v_add_f32_e32 v20, v20, v36
	v_add_f32_e32 v21, v21, v37
	v_lshlrev_b32_e32 v8, 3, v0
	v_add_f32_e32 v25, v25, v41
	v_add_f32_e32 v2, v27, v44
	v_add_f32_e32 v3, v26, v42
	v_add_f32_e32 v19, v19, v35
	v_add_f32_e32 v22, v22, v38
	v_add_f32_e32 v23, v23, v39
	ds_write2_b64 v115, v[16:17], v[20:21] offset0:4 offset1:5
	ds_write2_b64 v115, v[24:25], v[2:3] offset0:6 offset1:7
	;; [unrolled: 1-line block ×4, first 2 shown]
	ds_write_b64 v115, v[6:7] offset:96
	s_waitcnt lgkmcnt(0)
	s_barrier
	buffer_gl0_inv
	s_clause 0x5
	global_load_dwordx4 v[20:23], v8, s[2:3]
	global_load_dwordx4 v[16:19], v8, s[2:3] offset:16
	global_load_dwordx4 v[4:7], v8, s[2:3] offset:32
	;; [unrolled: 1-line block ×5, first 2 shown]
	v_mov_b32_e32 v37, 0xa9
	ds_read2_b64 v[24:27], v109 offset0:104 offset1:156
	ds_read2_b64 v[33:36], v114 offset0:80 offset1:132
	v_mul_u32_u24_sdwa v31, v31, v37 dst_sel:DWORD dst_unused:UNUSED_PAD src0_sel:WORD_0 src1_sel:DWORD
	ds_read2_b64 v[37:40], v30 offset0:56 offset1:108
	ds_read2_b64 v[41:44], v30 offset0:160 offset1:212
	v_add_lshl_u32 v113, v31, v32, 3
	ds_read2_b64 v[45:48], v29 offset0:8 offset1:60
	ds_read_b64 v[31:32], v109 offset:4992
	ds_read2_b64 v[49:52], v109 offset1:52
	s_waitcnt vmcnt(0) lgkmcnt(0)
	s_barrier
	buffer_gl0_inv
	v_mul_f32_e32 v53, v25, v23
	v_mul_f32_e32 v104, v51, v21
	;; [unrolled: 1-line block ×10, first 2 shown]
	v_fma_f32 v53, v24, v22, -v53
	v_fmac_f32_e32 v103, v32, v10
	v_fmac_f32_e32 v104, v52, v20
	v_fma_f32 v24, v51, v20, -v105
	v_mul_f32_e32 v55, v27, v17
	v_mul_f32_e32 v56, v26, v17
	;; [unrolled: 1-line block ×9, first 2 shown]
	v_fmac_f32_e32 v54, v25, v22
	v_fmac_f32_e32 v64, v40, v0
	v_fma_f32 v40, v43, v12, -v67
	v_fmac_f32_e32 v68, v44, v12
	v_fma_f32 v44, v31, v10, -v102
	v_fmac_f32_e32 v101, v48, v8
	v_sub_f32_e32 v43, v104, v103
	v_add_f32_e32 v48, v49, v24
	v_add_f32_e32 v51, v50, v104
	v_mul_f32_e32 v57, v34, v19
	v_mul_f32_e32 v58, v33, v19
	v_mul_f32_e32 v61, v38, v7
	v_fma_f32 v55, v26, v16, -v55
	v_fmac_f32_e32 v56, v27, v16
	v_fmac_f32_e32 v62, v38, v6
	v_fma_f32 v38, v39, v0, -v63
	v_fma_f32 v39, v41, v2, -v65
	v_fmac_f32_e32 v66, v42, v2
	v_fma_f32 v41, v45, v14, -v69
	v_fmac_f32_e32 v70, v46, v14
	v_fma_f32 v42, v47, v8, -v71
	v_add_f32_e32 v45, v24, v44
	v_sub_f32_e32 v46, v24, v44
	v_mul_f32_e32 v106, 0xbeedf032, v43
	v_mul_f32_e32 v107, 0xbf52af12, v43
	;; [unrolled: 1-line block ×6, first 2 shown]
	v_add_f32_e32 v48, v48, v53
	v_add_f32_e32 v51, v51, v54
	v_mul_f32_e32 v59, v36, v5
	v_mul_f32_e32 v60, v35, v5
	v_fma_f32 v57, v33, v18, -v57
	v_fmac_f32_e32 v58, v34, v18
	v_fma_f32 v37, v37, v6, -v61
	v_add_f32_e32 v47, v104, v103
	v_sub_f32_e32 v52, v54, v101
	v_sub_f32_e32 v61, v53, v42
	v_mul_f32_e32 v119, 0xbf52af12, v46
	v_fma_f32 v169, 0x3f62ad3f, v45, -v106
	v_fmac_f32_e32 v106, 0x3f62ad3f, v45
	v_fma_f32 v170, 0x3f116cb1, v45, -v107
	v_fmac_f32_e32 v107, 0x3f116cb1, v45
	;; [unrolled: 2-line block ×6, first 2 shown]
	v_add_f32_e32 v48, v48, v55
	v_add_f32_e32 v51, v51, v56
	v_fma_f32 v59, v35, v4, -v59
	v_fmac_f32_e32 v60, v36, v4
	v_add_f32_e32 v35, v53, v42
	v_add_f32_e32 v36, v54, v101
	v_sub_f32_e32 v63, v56, v70
	v_sub_f32_e32 v65, v55, v41
	v_mul_f32_e32 v118, 0xbeedf032, v46
	v_mul_f32_e32 v120, 0xbf7e222b, v46
	;; [unrolled: 1-line block ×7, first 2 shown]
	v_fmamk_f32 v175, v47, 0x3f116cb1, v119
	v_add_f32_e32 v169, v49, v169
	v_add_f32_e32 v106, v49, v106
	v_add_f32_e32 v170, v49, v170
	v_add_f32_e32 v107, v49, v107
	v_add_f32_e32 v171, v49, v171
	v_add_f32_e32 v108, v49, v108
	v_add_f32_e32 v172, v49, v172
	v_add_f32_e32 v116, v49, v116
	v_add_f32_e32 v173, v49, v173
	v_add_f32_e32 v117, v49, v117
	v_add_f32_e32 v174, v49, v174
	v_add_f32_e32 v49, v49, v43
	v_add_f32_e32 v43, v48, v57
	v_add_f32_e32 v48, v51, v58
	v_add_f32_e32 v33, v55, v41
	v_add_f32_e32 v34, v56, v70
	v_sub_f32_e32 v67, v58, v68
	v_sub_f32_e32 v69, v57, v40
	v_mul_f32_e32 v125, 0xbe750f2a, v63
	v_mul_f32_e32 v126, 0xbe750f2a, v65
	v_mul_f32_e32 v133, 0xbe750f2a, v52
	v_mul_f32_e32 v134, 0xbe750f2a, v61
	v_fmamk_f32 v45, v47, 0x3f62ad3f, v118
	v_fma_f32 v118, 0x3f62ad3f, v47, -v118
	v_fma_f32 v119, 0x3f116cb1, v47, -v119
	v_fmamk_f32 v176, v47, 0x3df6dbef, v120
	v_fma_f32 v120, 0x3df6dbef, v47, -v120
	v_fmamk_f32 v177, v47, 0xbeb58ec6, v121
	;; [unrolled: 2-line block ×4, first 2 shown]
	v_fma_f32 v46, 0xbf788fa5, v47, -v46
	v_fma_f32 v47, 0xbeb58ec6, v35, -v123
	v_fmamk_f32 v180, v36, 0xbeb58ec6, v124
	v_add_f32_e32 v175, v50, v175
	v_add_f32_e32 v43, v43, v59
	;; [unrolled: 1-line block ×5, first 2 shown]
	v_sub_f32_e32 v71, v60, v66
	v_sub_f32_e32 v102, v59, v39
	v_add_f32_e32 v24, v37, v38
	v_sub_f32_e32 v105, v37, v38
	v_mul_f32_e32 v127, 0x3f29c268, v67
	v_mul_f32_e32 v128, 0x3f29c268, v69
	;; [unrolled: 1-line block ×7, first 2 shown]
	v_fma_f32 v181, 0xbf788fa5, v33, -v125
	v_fmamk_f32 v182, v34, 0xbf788fa5, v126
	v_fma_f32 v189, 0xbf788fa5, v35, -v133
	v_fmamk_f32 v190, v36, 0xbf788fa5, v134
	v_add_f32_e32 v45, v50, v45
	v_add_f32_e32 v118, v50, v118
	v_add_f32_e32 v119, v50, v119
	v_add_f32_e32 v176, v50, v176
	v_add_f32_e32 v120, v50, v120
	v_add_f32_e32 v177, v50, v177
	v_add_f32_e32 v121, v50, v121
	v_add_f32_e32 v178, v50, v178
	v_add_f32_e32 v122, v50, v122
	v_add_f32_e32 v179, v50, v179
	v_add_f32_e32 v46, v50, v46
	v_add_f32_e32 v47, v47, v170
	v_add_f32_e32 v50, v180, v175
	v_add_f32_e32 v37, v43, v37
	v_add_f32_e32 v43, v48, v62
	v_add_f32_e32 v26, v59, v39
	v_add_f32_e32 v27, v60, v66
	v_sub_f32_e32 v104, v62, v64
	v_mul_f32_e32 v129, 0x3f7e222b, v71
	v_mul_f32_e32 v130, 0x3f7e222b, v102
	v_mul_f32_e32 v137, 0x3eedf032, v67
	v_mul_f32_e32 v138, 0x3eedf032, v69
	v_mul_f32_e32 v144, 0xbf52af12, v61
	v_mul_f32_e32 v153, 0x3eedf032, v63
	v_mul_f32_e32 v154, 0x3eedf032, v65
	v_mul_f32_e32 v163, 0xbf52af12, v63
	v_fma_f32 v183, 0xbf3f9e67, v31, -v127
	v_fmamk_f32 v184, v32, 0xbf3f9e67, v128
	v_fma_f32 v191, 0xbeb58ec6, v33, -v135
	v_fmamk_f32 v192, v34, 0xbeb58ec6, v136
	;; [unrolled: 2-line block ×3, first 2 shown]
	v_fma_f32 v217, 0x3df6dbef, v35, -v161
	v_add_f32_e32 v51, v189, v171
	v_add_f32_e32 v57, v190, v176
	;; [unrolled: 1-line block ×7, first 2 shown]
	v_mul_f32_e32 v131, 0x3eedf032, v104
	v_mul_f32_e32 v132, 0x3eedf032, v105
	;; [unrolled: 1-line block ×9, first 2 shown]
	v_fma_f32 v185, 0x3df6dbef, v26, -v129
	v_fmamk_f32 v186, v27, 0x3df6dbef, v130
	v_fma_f32 v193, 0x3f62ad3f, v31, -v137
	v_fmamk_f32 v194, v32, 0x3f62ad3f, v138
	v_fmamk_f32 v200, v36, 0x3f116cb1, v144
	v_fma_f32 v209, 0x3f62ad3f, v33, -v153
	v_fmamk_f32 v210, v34, 0x3f62ad3f, v154
	v_fma_f32 v219, 0x3f116cb1, v33, -v163
	v_add_f32_e32 v55, v55, v172
	v_add_f32_e32 v56, v56, v177
	;; [unrolled: 1-line block ×9, first 2 shown]
	v_mul_f32_e32 v141, 0xbf29c268, v104
	v_mul_f32_e32 v142, 0xbf29c268, v105
	;; [unrolled: 1-line block ×5, first 2 shown]
	v_fma_f32 v187, 0x3f62ad3f, v24, -v131
	v_fmamk_f32 v188, v25, 0x3f62ad3f, v132
	v_fma_f32 v195, 0x3f116cb1, v26, -v139
	v_fmamk_f32 v196, v27, 0x3f116cb1, v140
	;; [unrolled: 2-line block ×4, first 2 shown]
	v_fma_f32 v221, 0xbf788fa5, v31, -v165
	v_add_f32_e32 v45, v200, v45
	v_add_f32_e32 v48, v209, v55
	;; [unrolled: 1-line block ×10, first 2 shown]
	v_mul_f32_e32 v147, 0xbf6f5d39, v67
	v_mul_f32_e32 v150, 0xbf29c268, v102
	;; [unrolled: 1-line block ×4, first 2 shown]
	v_fma_f32 v197, 0xbf3f9e67, v24, -v141
	v_fmamk_f32 v198, v25, 0xbf3f9e67, v142
	v_fma_f32 v201, 0x3df6dbef, v33, -v145
	v_fmamk_f32 v204, v32, 0xbeb58ec6, v148
	v_fmamk_f32 v218, v36, 0x3df6dbef, v162
	v_add_f32_e32 v58, v199, v169
	v_add_f32_e32 v45, v202, v45
	;; [unrolled: 1-line block ×11, first 2 shown]
	v_mul_f32_e32 v149, 0xbf29c268, v71
	v_mul_f32_e32 v152, 0xbe750f2a, v105
	;; [unrolled: 1-line block ×5, first 2 shown]
	v_fma_f32 v203, 0xbeb58ec6, v31, -v147
	v_fmamk_f32 v206, v27, 0xbf3f9e67, v150
	v_fmamk_f32 v214, v27, 0xbf788fa5, v158
	;; [unrolled: 1-line block ×3, first 2 shown]
	v_add_f32_e32 v60, v218, v178
	v_add_f32_e32 v58, v201, v58
	;; [unrolled: 1-line block ×7, first 2 shown]
	v_mul_f32_e32 v151, 0xbe750f2a, v104
	v_mul_f32_e32 v168, 0x3eedf032, v102
	v_fma_f32 v205, 0xbf3f9e67, v26, -v149
	v_fmamk_f32 v208, v25, 0xbf788fa5, v152
	v_fmamk_f32 v216, v25, 0x3f116cb1, v160
	;; [unrolled: 1-line block ×3, first 2 shown]
	v_add_f32_e32 v59, v220, v60
	v_add_f32_e32 v58, v203, v58
	;; [unrolled: 1-line block ×4, first 2 shown]
	ds_write2_b64 v113, v[37:38], v[39:40] offset0:26 offset1:39
	v_add_f32_e32 v37, v47, v44
	v_add_f32_e32 v38, v50, v103
	v_fma_f32 v40, 0x3f62ad3f, v26, -v167
	v_mul_f32_e32 v50, 0xbf6f5d39, v104
	v_mul_f32_e32 v47, 0x3eedf032, v52
	;; [unrolled: 1-line block ×3, first 2 shown]
	v_fma_f32 v207, 0xbf788fa5, v24, -v151
	v_add_f32_e32 v57, v205, v58
	v_add_f32_e32 v42, v208, v45
	;; [unrolled: 1-line block ×3, first 2 shown]
	v_fmamk_f32 v45, v27, 0x3f62ad3f, v168
	v_add_f32_e32 v44, v216, v48
	v_add_f32_e32 v40, v40, v55
	v_fma_f32 v48, 0xbeb58ec6, v24, -v50
	v_fma_f32 v51, 0x3f62ad3f, v35, -v47
	v_mul_f32_e32 v52, 0x3eedf032, v61
	v_mul_f32_e32 v55, 0xbf29c268, v63
	;; [unrolled: 1-line block ×3, first 2 shown]
	v_fma_f32 v213, 0xbf788fa5, v26, -v157
	v_mul_f32_e32 v56, 0xbf6f5d39, v105
	v_add_f32_e32 v41, v207, v57
	v_add_f32_e32 v45, v45, v39
	;; [unrolled: 1-line block ×4, first 2 shown]
	v_fmamk_f32 v48, v36, 0x3f62ad3f, v52
	v_fma_f32 v51, 0xbf3f9e67, v33, -v55
	v_mul_f32_e32 v57, 0xbf29c268, v65
	v_mul_f32_e32 v59, 0x3f52af12, v67
	v_fma_f32 v215, 0x3f116cb1, v24, -v159
	v_add_f32_e32 v43, v213, v43
	v_fmamk_f32 v58, v25, 0xbeb58ec6, v56
	v_add_f32_e32 v48, v48, v179
	v_add_f32_e32 v51, v51, v40
	v_fmamk_f32 v60, v34, 0xbf3f9e67, v57
	v_mul_f32_e32 v61, 0x3f52af12, v69
	v_fma_f32 v62, 0x3f116cb1, v31, -v59
	v_mul_f32_e32 v63, 0xbf6f5d39, v71
	v_add_f32_e32 v43, v215, v43
	v_add_f32_e32 v40, v58, v45
	;; [unrolled: 1-line block ×3, first 2 shown]
	v_fmamk_f32 v48, v32, 0x3f116cb1, v61
	v_add_f32_e32 v51, v62, v51
	v_fma_f32 v58, 0xbeb58ec6, v26, -v63
	ds_write2_b64 v113, v[37:38], v[41:42] offset1:13
	ds_write2_b64 v113, v[43:44], v[39:40] offset0:52 offset1:65
	v_mul_f32_e32 v39, 0xbf6f5d39, v102
	v_mul_f32_e32 v40, 0x3f7e222b, v104
	v_add_f32_e32 v37, v48, v45
	v_add_f32_e32 v38, v58, v51
	v_fmac_f32_e32 v47, 0x3f62ad3f, v35
	v_fma_f32 v41, 0x3f62ad3f, v36, -v52
	v_fmamk_f32 v42, v27, 0xbeb58ec6, v39
	v_mul_f32_e32 v43, 0x3f7e222b, v105
	v_fma_f32 v44, 0x3df6dbef, v24, -v40
	v_add_f32_e32 v45, v47, v49
	v_add_f32_e32 v41, v41, v46
	v_fmac_f32_e32 v55, 0xbf3f9e67, v33
	v_fma_f32 v46, 0xbf3f9e67, v34, -v57
	v_add_f32_e32 v42, v42, v37
	v_add_f32_e32 v37, v44, v38
	v_fmamk_f32 v38, v25, 0x3df6dbef, v43
	v_add_f32_e32 v44, v55, v45
	v_add_f32_e32 v41, v46, v41
	v_fmac_f32_e32 v59, 0x3f116cb1, v31
	v_fma_f32 v45, 0x3f116cb1, v32, -v61
	v_add_f32_e32 v38, v38, v42
	v_fmac_f32_e32 v123, 0xbeb58ec6, v35
	v_fma_f32 v42, 0xbeb58ec6, v36, -v124
	v_add_f32_e32 v44, v59, v44
	v_add_f32_e32 v41, v45, v41
	v_fmac_f32_e32 v63, 0xbeb58ec6, v26
	v_add_f32_e32 v45, v123, v107
	v_add_f32_e32 v42, v42, v119
	v_fmac_f32_e32 v125, 0xbf788fa5, v33
	v_fma_f32 v46, 0xbf788fa5, v34, -v126
	v_fma_f32 v39, 0xbeb58ec6, v27, -v39
	v_add_f32_e32 v44, v63, v44
	v_fmac_f32_e32 v40, 0x3df6dbef, v24
	v_add_f32_e32 v45, v125, v45
	v_add_f32_e32 v46, v46, v42
	v_fmac_f32_e32 v127, 0xbf3f9e67, v31
	v_fma_f32 v47, 0xbf3f9e67, v32, -v128
	v_add_f32_e32 v39, v39, v41
	v_fma_f32 v41, 0x3df6dbef, v25, -v43
	v_add_f32_e32 v42, v40, v44
	v_add_f32_e32 v40, v127, v45
	;; [unrolled: 1-line block ×3, first 2 shown]
	v_fma_f32 v45, 0x3df6dbef, v27, -v130
	v_fmac_f32_e32 v133, 0xbf788fa5, v35
	v_add_f32_e32 v43, v41, v39
	v_fma_f32 v39, 0xbf788fa5, v36, -v134
	v_fmac_f32_e32 v129, 0x3df6dbef, v26
	v_add_f32_e32 v41, v45, v44
	v_add_f32_e32 v44, v133, v108
	v_fmac_f32_e32 v135, 0xbeb58ec6, v33
	v_add_f32_e32 v39, v39, v120
	v_fma_f32 v45, 0xbeb58ec6, v34, -v136
	v_add_f32_e32 v40, v129, v40
	v_fmac_f32_e32 v131, 0x3f62ad3f, v24
	v_fma_f32 v46, 0x3f62ad3f, v25, -v132
	v_add_f32_e32 v47, v135, v44
	v_fmac_f32_e32 v137, 0x3f62ad3f, v31
	v_add_f32_e32 v39, v45, v39
	v_fma_f32 v48, 0x3f62ad3f, v32, -v138
	v_fmac_f32_e32 v53, 0xbf3f9e67, v35
	v_add_f32_e32 v44, v131, v40
	v_add_f32_e32 v45, v46, v41
	v_add_f32_e32 v40, v137, v47
	v_add_f32_e32 v39, v48, v39
	v_fma_f32 v41, 0xbf3f9e67, v36, -v54
	v_fma_f32 v46, 0x3f116cb1, v27, -v140
	v_add_f32_e32 v47, v53, v116
	v_fmac_f32_e32 v153, 0x3f62ad3f, v33
	v_fmac_f32_e32 v139, 0x3f116cb1, v26
	v_add_f32_e32 v41, v41, v121
	v_fma_f32 v48, 0x3f62ad3f, v34, -v154
	v_add_f32_e32 v39, v46, v39
	v_add_f32_e32 v46, v153, v47
	v_fmac_f32_e32 v155, 0x3df6dbef, v31
	v_add_f32_e32 v40, v139, v40
	v_fmac_f32_e32 v141, 0xbf3f9e67, v24
	v_add_f32_e32 v41, v48, v41
	v_fma_f32 v47, 0x3df6dbef, v32, -v156
	v_fma_f32 v48, 0xbf3f9e67, v25, -v142
	v_add_f32_e32 v49, v155, v46
	v_fmac_f32_e32 v157, 0xbf788fa5, v26
	v_fmac_f32_e32 v161, 0x3df6dbef, v35
	v_add_f32_e32 v46, v141, v40
	v_add_f32_e32 v40, v47, v41
	;; [unrolled: 1-line block ×4, first 2 shown]
	v_fma_f32 v48, 0x3df6dbef, v36, -v162
	v_add_f32_e32 v49, v161, v117
	v_fmac_f32_e32 v163, 0x3f116cb1, v33
	v_fmac_f32_e32 v143, 0x3f116cb1, v35
	v_fma_f32 v35, 0x3f116cb1, v36, -v144
	v_fmac_f32_e32 v159, 0x3f116cb1, v24
	v_add_f32_e32 v51, v48, v122
	v_fma_f32 v52, 0x3f116cb1, v34, -v164
	v_add_f32_e32 v36, v163, v49
	v_fmac_f32_e32 v165, 0xbf788fa5, v31
	v_add_f32_e32 v49, v143, v106
	v_add_f32_e32 v35, v35, v118
	v_fmac_f32_e32 v145, 0x3df6dbef, v33
	v_fma_f32 v33, 0x3df6dbef, v34, -v146
	v_add_f32_e32 v48, v159, v39
	v_add_f32_e32 v39, v52, v51
	;; [unrolled: 1-line block ×3, first 2 shown]
	v_fma_f32 v36, 0xbf788fa5, v32, -v166
	v_add_f32_e32 v49, v145, v49
	v_add_f32_e32 v33, v33, v35
	v_fmac_f32_e32 v147, 0xbeb58ec6, v31
	v_fma_f32 v31, 0xbeb58ec6, v32, -v148
	v_fma_f32 v41, 0xbf788fa5, v27, -v158
	v_fmac_f32_e32 v167, 0x3f62ad3f, v26
	v_add_f32_e32 v32, v36, v39
	v_fma_f32 v35, 0x3f62ad3f, v27, -v168
	v_add_f32_e32 v36, v147, v49
	v_add_f32_e32 v31, v31, v33
	v_fmac_f32_e32 v149, 0xbf3f9e67, v26
	v_fma_f32 v26, 0xbf3f9e67, v27, -v150
	v_add_f32_e32 v40, v41, v40
	v_fma_f32 v41, 0x3f116cb1, v25, -v160
	v_add_f32_e32 v34, v167, v34
	v_add_f32_e32 v27, v35, v32
	v_fmac_f32_e32 v50, 0xbeb58ec6, v24
	v_fma_f32 v32, 0xbeb58ec6, v25, -v56
	v_add_f32_e32 v33, v149, v36
	v_add_f32_e32 v26, v26, v31
	v_fmac_f32_e32 v151, 0xbf788fa5, v24
	v_fma_f32 v31, 0xbf788fa5, v25, -v152
	v_add_f32_e32 v49, v41, v40
	v_add_f32_e32 v24, v50, v34
	;; [unrolled: 1-line block ×5, first 2 shown]
	ds_write2_b64 v113, v[37:38], v[42:43] offset0:78 offset1:91
	ds_write2_b64 v113, v[24:25], v[48:49] offset0:104 offset1:117
	;; [unrolled: 1-line block ×3, first 2 shown]
	ds_write_b64 v113, v[40:41] offset:1248
	s_waitcnt lgkmcnt(0)
	s_barrier
	buffer_gl0_inv
	ds_read2_b64 v[68:71], v30 offset0:82 offset1:134
	ds_read2_b64 v[56:59], v30 offset0:186 offset1:251
	;; [unrolled: 1-line block ×3, first 2 shown]
	ds_read2_b64 v[48:51], v109 offset1:52
	ds_read2_b64 v[44:47], v109 offset0:104 offset1:169
	ds_read2_b64 v[64:67], v114 offset0:93 offset1:145
                                        ; implicit-def: $vgpr54
	s_and_saveexec_b32 s0, vcc_lo
	s_cbranch_execz .LBB0_3
; %bb.2:
	v_add_nc_u32_e32 v24, 0xe00, v109
	ds_read2_b64 v[40:43], v114 offset0:28 offset1:197
	ds_read2_b64 v[52:55], v24 offset0:46 offset1:215
.LBB0_3:
	s_or_b32 exec_lo, exec_lo, s0
	v_mad_u64_u32 v[24:25], null, v110, 24, s[2:3]
	v_add_nc_u32_e32 v26, 0x9c, v110
	v_add_nc_u32_e32 v27, -13, v110
	s_clause 0x1
	global_load_dwordx4 v[28:31], v[24:25], off offset:1248
	global_load_dwordx2 v[103:104], v[24:25], off offset:1264
	v_add_co_u32 v24, s0, 0x4e0, v24
	v_cndmask_b32_e32 v26, v27, v26, vcc_lo
	v_add_co_ci_u32_e64 v25, s0, 0, v25, s0
	s_clause 0x1
	global_load_dwordx4 v[36:39], v[24:25], off offset:1248
	global_load_dwordx2 v[107:108], v[24:25], off offset:1264
	v_mul_i32_i24_e32 v27, 24, v26
	v_add_co_u32 v24, s0, 0x4e0, v24
	v_mul_hi_i32_i24_e32 v26, 24, v26
	v_add_co_ci_u32_e64 v25, s0, 0, v25, s0
	v_add_co_u32 v101, s0, s2, v27
	v_add_co_ci_u32_e64 v102, s0, s3, v26, s0
	s_clause 0x3
	global_load_dwordx4 v[32:35], v[24:25], off offset:1248
	global_load_dwordx2 v[105:106], v[24:25], off offset:1264
	global_load_dwordx4 v[24:27], v[101:102], off offset:1248
	global_load_dwordx2 v[101:102], v[101:102], off offset:1264
	s_waitcnt vmcnt(7) lgkmcnt(1)
	v_mul_f32_e32 v116, v47, v29
	v_mul_f32_e32 v117, v46, v29
	;; [unrolled: 1-line block ×4, first 2 shown]
	s_waitcnt vmcnt(6)
	v_mul_f32_e32 v120, v59, v104
	v_mul_f32_e32 v121, v58, v104
	v_fma_f32 v46, v46, v28, -v116
	v_fmac_f32_e32 v117, v47, v28
	v_fma_f32 v47, v68, v30, -v118
	v_fmac_f32_e32 v119, v69, v30
	;; [unrolled: 2-line block ×3, first 2 shown]
	s_waitcnt vmcnt(5) lgkmcnt(0)
	v_mul_f32_e32 v59, v65, v37
	v_mul_f32_e32 v68, v64, v37
	;; [unrolled: 1-line block ×4, first 2 shown]
	s_waitcnt vmcnt(4)
	v_mul_f32_e32 v118, v61, v108
	v_mul_f32_e32 v120, v60, v108
	v_fma_f32 v59, v64, v36, -v59
	v_fmac_f32_e32 v68, v65, v36
	v_fma_f32 v64, v70, v38, -v69
	v_fmac_f32_e32 v116, v71, v38
	v_fma_f32 v60, v60, v107, -v118
	v_fmac_f32_e32 v120, v61, v107
	s_waitcnt vmcnt(3)
	v_mul_f32_e32 v61, v67, v33
	v_mul_f32_e32 v65, v66, v33
	;; [unrolled: 1-line block ×4, first 2 shown]
	s_waitcnt vmcnt(2)
	v_mul_f32_e32 v71, v63, v106
	v_mul_f32_e32 v118, v62, v106
	v_sub_f32_e32 v122, v48, v47
	v_sub_f32_e32 v119, v49, v119
	;; [unrolled: 1-line block ×4, first 2 shown]
	s_waitcnt vmcnt(1)
	v_mul_f32_e32 v121, v43, v25
	v_mul_f32_e32 v123, v42, v25
	;; [unrolled: 1-line block ×4, first 2 shown]
	s_waitcnt vmcnt(0)
	v_mul_f32_e32 v126, v55, v102
	v_mul_f32_e32 v127, v54, v102
	v_fma_f32 v61, v66, v32, -v61
	v_fmac_f32_e32 v65, v67, v32
	v_fma_f32 v56, v56, v34, -v69
	v_fmac_f32_e32 v70, v57, v34
	;; [unrolled: 2-line block ×3, first 2 shown]
	v_fma_f32 v62, v48, 2.0, -v122
	v_fma_f32 v63, v49, 2.0, -v119
	;; [unrolled: 1-line block ×4, first 2 shown]
	v_sub_f32_e32 v46, v122, v58
	v_sub_f32_e32 v58, v50, v64
	;; [unrolled: 1-line block ×5, first 2 shown]
	v_add_f32_e32 v47, v119, v47
	v_fma_f32 v67, v42, v24, -v121
	v_fmac_f32_e32 v123, v43, v24
	v_fma_f32 v52, v52, v26, -v124
	v_fmac_f32_e32 v125, v53, v26
	;; [unrolled: 2-line block ×3, first 2 shown]
	v_fma_f32 v69, v50, 2.0, -v58
	v_fma_f32 v71, v51, 2.0, -v64
	;; [unrolled: 1-line block ×4, first 2 shown]
	v_sub_f32_e32 v50, v58, v66
	v_add_f32_e32 v51, v64, v60
	v_sub_f32_e32 v66, v44, v56
	v_sub_f32_e32 v68, v45, v70
	;; [unrolled: 1-line block ×6, first 2 shown]
	v_fma_f32 v48, v122, 2.0, -v46
	v_fma_f32 v49, v119, 2.0, -v47
	ds_write_b64 v109, v[46:47] offset:4056
	v_sub_f32_e32 v70, v40, v52
	v_sub_f32_e32 v116, v41, v125
	;; [unrolled: 1-line block ×4, first 2 shown]
	v_fma_f32 v57, v64, 2.0, -v51
	v_fma_f32 v64, v44, 2.0, -v66
	;; [unrolled: 1-line block ×7, first 2 shown]
	v_sub_f32_e32 v54, v69, v54
	v_sub_f32_e32 v55, v71, v55
	ds_write_b64 v109, v[48:49] offset:1352
	ds_write_b64 v109, v[42:43] offset:2704
	v_fma_f32 v40, v40, 2.0, -v70
	v_fma_f32 v41, v41, 2.0, -v116
	;; [unrolled: 1-line block ×4, first 2 shown]
	v_sub_f32_e32 v46, v70, v46
	v_add_f32_e32 v47, v116, v47
	v_fma_f32 v56, v58, 2.0, -v50
	v_sub_f32_e32 v58, v66, v60
	v_sub_f32_e32 v60, v64, v44
	;; [unrolled: 1-line block ×3, first 2 shown]
	v_add_f32_e32 v59, v68, v59
	v_fma_f32 v48, v69, 2.0, -v54
	v_fma_f32 v49, v71, 2.0, -v55
	v_sub_f32_e32 v44, v40, v42
	v_sub_f32_e32 v45, v41, v43
	v_fma_f32 v42, v70, 2.0, -v46
	v_fma_f32 v43, v116, 2.0, -v47
	;; [unrolled: 1-line block ×6, first 2 shown]
	ds_write2_b64 v109, v[52:53], v[48:49] offset1:52
	ds_write_b64 v109, v[54:55] offset:3120
	ds_write_b64 v109, v[50:51] offset:4472
	;; [unrolled: 1-line block ×3, first 2 shown]
	ds_write2_b64 v114, v[56:57], v[62:63] offset0:93 offset1:145
	ds_write_b64 v109, v[60:61] offset:3536
	ds_write_b64 v109, v[58:59] offset:4888
	s_and_saveexec_b32 s0, vcc_lo
	s_cbranch_execz .LBB0_5
; %bb.4:
	v_fma_f32 v41, v41, 2.0, -v45
	v_fma_f32 v40, v40, 2.0, -v44
	v_add_nc_u32_e32 v48, 0x400, v109
	v_add_nc_u32_e32 v49, 0xe00, v109
	ds_write2_b64 v48, v[40:41], v[42:43] offset0:28 offset1:197
	ds_write2_b64 v49, v[44:45], v[46:47] offset0:46 offset1:215
.LBB0_5:
	s_or_b32 exec_lo, exec_lo, s0
	v_add_co_u32 v40, s0, 0x1520, v111
	v_add_co_ci_u32_e64 v41, s0, 0, v112, s0
	s_waitcnt lgkmcnt(0)
	s_barrier
	buffer_gl0_inv
	s_clause 0x1
	global_load_dwordx2 v[52:53], v[99:100], off offset:1312
	global_load_dwordx2 v[54:55], v[40:41], off offset:416
	v_add_co_u32 v48, s0, 0x1800, v111
	v_add_co_ci_u32_e64 v49, s0, 0, v112, s0
	v_add_co_u32 v50, s0, 0x2000, v111
	v_add_co_ci_u32_e64 v51, s0, 0, v112, s0
	s_clause 0x7
	global_load_dwordx2 v[99:100], v[40:41], off offset:832
	global_load_dwordx2 v[116:117], v[40:41], off offset:1248
	;; [unrolled: 1-line block ×8, first 2 shown]
	v_add_co_u32 v48, s0, 0x2800, v111
	v_add_co_ci_u32_e64 v49, s0, 0, v112, s0
	s_clause 0x2
	global_load_dwordx2 v[111:112], v[50:51], off offset:1376
	global_load_dwordx2 v[128:129], v[50:51], off offset:1792
	;; [unrolled: 1-line block ×3, first 2 shown]
	ds_read2_b64 v[48:51], v109 offset1:52
	v_add_nc_u32_e32 v68, 0x400, v109
	v_add_nc_u32_e32 v70, 0x800, v109
	;; [unrolled: 1-line block ×3, first 2 shown]
	s_waitcnt vmcnt(12) lgkmcnt(0)
	v_mul_f32_e32 v57, v49, v53
	v_mul_f32_e32 v56, v48, v53
	s_waitcnt vmcnt(11)
	v_mul_f32_e32 v58, v51, v55
	v_mul_f32_e32 v53, v50, v55
	v_fma_f32 v55, v48, v52, -v57
	v_fmac_f32_e32 v56, v49, v52
	v_fma_f32 v52, v50, v54, -v58
	v_fmac_f32_e32 v53, v51, v54
	ds_write2_b64 v109, v[55:56], v[52:53] offset1:52
	ds_read2_b64 v[48:51], v109 offset0:104 offset1:156
	ds_read2_b64 v[52:55], v68 offset0:80 offset1:132
	;; [unrolled: 1-line block ×5, first 2 shown]
	ds_read_b64 v[132:133], v109 offset:4992
	s_waitcnt vmcnt(4) lgkmcnt(2)
	v_mul_f32_e32 v140, v61, v125
	v_mul_f32_e32 v71, v49, v100
	;; [unrolled: 1-line block ×14, first 2 shown]
	s_waitcnt vmcnt(3)
	v_mul_f32_e32 v141, v63, v127
	v_mul_f32_e32 v125, v62, v127
	s_waitcnt vmcnt(2) lgkmcnt(1)
	v_mul_f32_e32 v142, v65, v112
	v_mul_f32_e32 v127, v64, v112
	s_waitcnt vmcnt(1)
	v_mul_f32_e32 v143, v67, v129
	v_mul_f32_e32 v112, v66, v129
	s_waitcnt vmcnt(0) lgkmcnt(0)
	v_mul_f32_e32 v144, v133, v131
	v_mul_f32_e32 v129, v132, v131
	v_fma_f32 v134, v48, v99, -v71
	v_fmac_f32_e32 v135, v49, v99
	v_fma_f32 v99, v50, v116, -v114
	v_fmac_f32_e32 v100, v51, v116
	;; [unrolled: 2-line block ×11, first 2 shown]
	ds_write2_b64 v109, v[134:135], v[99:100] offset0:104 offset1:156
	ds_write2_b64 v68, v[116:117], v[40:41] offset0:80 offset1:132
	;; [unrolled: 1-line block ×5, first 2 shown]
	ds_write_b64 v109, v[128:129] offset:4992
	s_waitcnt lgkmcnt(0)
	s_barrier
	buffer_gl0_inv
	ds_read2_b64 v[60:63], v109 offset1:52
	ds_read_b64 v[40:41], v109 offset:4992
	ds_read2_b64 v[116:119], v109 offset0:104 offset1:156
	ds_read2_b64 v[52:55], v69 offset0:8 offset1:60
	;; [unrolled: 1-line block ×5, first 2 shown]
	s_waitcnt lgkmcnt(0)
	s_barrier
	buffer_gl0_inv
	v_add_f32_e32 v71, v60, v62
	v_add_f32_e32 v99, v61, v63
	;; [unrolled: 1-line block ×3, first 2 shown]
	v_sub_f32_e32 v63, v63, v41
	v_add_f32_e32 v100, v40, v62
	v_add_f32_e32 v71, v71, v116
	;; [unrolled: 1-line block ×4, first 2 shown]
	v_sub_f32_e32 v121, v116, v54
	v_mul_f32_e32 v116, 0xbeedf032, v63
	v_mul_f32_e32 v134, 0xbf52af12, v63
	v_mul_f32_e32 v136, 0xbf7e222b, v63
	v_mul_f32_e32 v138, 0xbf6f5d39, v63
	v_mul_f32_e32 v140, 0xbf29c268, v63
	v_mul_f32_e32 v63, 0xbe750f2a, v63
	v_add_f32_e32 v71, v71, v118
	v_add_f32_e32 v99, v99, v119
	;; [unrolled: 1-line block ×3, first 2 shown]
	v_sub_f32_e32 v125, v118, v52
	v_add_f32_e32 v127, v58, v64
	v_add_f32_e32 v128, v59, v65
	v_sub_f32_e32 v129, v64, v58
	v_sub_f32_e32 v130, v65, v59
	v_fmamk_f32 v118, v100, 0x3f62ad3f, v116
	v_fma_f32 v116, 0x3f62ad3f, v100, -v116
	v_fmamk_f32 v182, v100, 0x3f116cb1, v134
	v_fma_f32 v134, 0x3f116cb1, v100, -v134
	;; [unrolled: 2-line block ×6, first 2 shown]
	v_add_f32_e32 v64, v71, v64
	v_add_f32_e32 v65, v99, v65
	;; [unrolled: 1-line block ×16, first 2 shown]
	v_sub_f32_e32 v112, v62, v40
	v_add_f32_e32 v120, v55, v117
	v_sub_f32_e32 v122, v117, v55
	v_add_f32_e32 v63, v63, v48
	v_add_f32_e32 v64, v64, v49
	v_mul_f32_e32 v117, 0x3f62ad3f, v111
	v_mul_f32_e32 v135, 0x3f116cb1, v111
	;; [unrolled: 1-line block ×5, first 2 shown]
	v_add_f32_e32 v63, v63, v50
	v_add_f32_e32 v64, v64, v51
	v_add_f32_e32 v124, v53, v119
	v_sub_f32_e32 v126, v119, v53
	v_add_f32_e32 v62, v56, v66
	v_add_f32_e32 v131, v57, v67
	v_sub_f32_e32 v132, v66, v56
	v_sub_f32_e32 v133, v67, v57
	v_mul_f32_e32 v111, 0xbf788fa5, v111
	v_mul_f32_e32 v142, 0xbf52af12, v122
	;; [unrolled: 1-line block ×12, first 2 shown]
	v_fmamk_f32 v119, v112, 0x3eedf032, v117
	v_fmac_f32_e32 v117, 0xbeedf032, v112
	v_fmamk_f32 v183, v112, 0x3f52af12, v135
	v_fmac_f32_e32 v135, 0xbf52af12, v112
	;; [unrolled: 2-line block ×5, first 2 shown]
	v_add_f32_e32 v56, v63, v56
	v_add_f32_e32 v57, v64, v57
	v_mul_f32_e32 v120, 0x3f62ad3f, v120
	v_mul_f32_e32 v152, 0xbf7e222b, v126
	;; [unrolled: 1-line block ×12, first 2 shown]
	v_fmamk_f32 v191, v112, 0x3e750f2a, v111
	v_fmac_f32_e32 v111, 0xbe750f2a, v112
	v_fmamk_f32 v100, v114, 0x3f116cb1, v142
	v_fmamk_f32 v112, v121, 0x3f52af12, v143
	v_fma_f32 v142, 0x3f116cb1, v114, -v142
	v_fmac_f32_e32 v143, 0xbf52af12, v121
	v_fmamk_f32 v192, v114, 0xbeb58ec6, v144
	v_fmamk_f32 v193, v121, 0x3f6f5d39, v145
	v_fma_f32 v144, 0xbeb58ec6, v114, -v144
	;; [unrolled: 4-line block ×4, first 2 shown]
	v_fmac_f32_e32 v149, 0x3f29c268, v121
	v_fmamk_f32 v198, v114, 0x3df6dbef, v150
	v_fmamk_f32 v199, v121, 0xbf7e222b, v151
	v_fmac_f32_e32 v151, 0x3f7e222b, v121
	v_fmamk_f32 v200, v114, 0x3f62ad3f, v122
	v_add_f32_e32 v99, v61, v119
	v_add_f32_e32 v117, v61, v117
	;; [unrolled: 1-line block ×12, first 2 shown]
	v_mul_f32_e32 v124, 0xbf3f9e67, v124
	v_mul_f32_e32 v162, 0xbf6f5d39, v130
	;; [unrolled: 1-line block ×12, first 2 shown]
	v_fma_f32 v150, 0x3df6dbef, v114, -v150
	v_fmamk_f32 v201, v121, 0xbeedf032, v120
	v_fma_f32 v114, 0x3f62ad3f, v114, -v122
	v_fmac_f32_e32 v120, 0x3eedf032, v121
	v_fmamk_f32 v121, v123, 0x3df6dbef, v152
	v_fmamk_f32 v122, v125, 0x3f7e222b, v153
	v_fma_f32 v152, 0x3df6dbef, v123, -v152
	v_fmac_f32_e32 v153, 0xbf7e222b, v125
	v_fmamk_f32 v202, v123, 0xbf788fa5, v154
	;; [unrolled: 4-line block ×4, first 2 shown]
	v_fmamk_f32 v207, v125, 0xbeedf032, v159
	v_fmac_f32_e32 v159, 0x3eedf032, v125
	v_fmamk_f32 v208, v123, 0x3f116cb1, v160
	v_fmamk_f32 v209, v125, 0x3f52af12, v161
	v_fmac_f32_e32 v161, 0xbf52af12, v125
	v_fmamk_f32 v210, v123, 0xbf3f9e67, v126
	v_add_f32_e32 v189, v61, v191
	v_add_f32_e32 v61, v61, v111
	v_add_f32_e32 v65, v100, v71
	v_add_f32_e32 v66, v112, v99
	v_add_f32_e32 v67, v142, v116
	v_add_f32_e32 v71, v143, v117
	v_add_f32_e32 v99, v192, v118
	v_add_f32_e32 v100, v193, v119
	v_add_f32_e32 v111, v144, v134
	v_add_f32_e32 v112, v145, v135
	v_add_f32_e32 v116, v194, v182
	v_add_f32_e32 v117, v195, v183
	v_add_f32_e32 v118, v146, v136
	v_add_f32_e32 v119, v147, v137
	v_add_f32_e32 v134, v196, v184
	v_add_f32_e32 v135, v197, v185
	v_add_f32_e32 v136, v148, v138
	v_add_f32_e32 v137, v149, v139
	v_add_f32_e32 v138, v198, v186
	v_add_f32_e32 v139, v199, v187
	v_add_f32_e32 v141, v151, v141
	v_add_f32_e32 v142, v200, v188
	v_add_f32_e32 v52, v56, v52
	v_add_f32_e32 v53, v57, v53
	v_mul_f32_e32 v128, 0x3f116cb1, v128
	v_mul_f32_e32 v172, 0xbf29c268, v133
	;; [unrolled: 1-line block ×12, first 2 shown]
	v_fma_f32 v158, 0x3f62ad3f, v123, -v158
	v_fma_f32 v160, 0x3f116cb1, v123, -v160
	v_fmamk_f32 v211, v125, 0x3f29c268, v124
	v_fma_f32 v123, 0xbf3f9e67, v123, -v126
	v_fmac_f32_e32 v124, 0xbf29c268, v125
	v_fmamk_f32 v125, v127, 0xbeb58ec6, v162
	v_fmamk_f32 v126, v129, 0x3f6f5d39, v163
	v_fma_f32 v162, 0xbeb58ec6, v127, -v162
	v_fmac_f32_e32 v163, 0xbf6f5d39, v129
	v_fmamk_f32 v212, v127, 0xbf3f9e67, v164
	;; [unrolled: 4-line block ×3, first 2 shown]
	v_fmamk_f32 v215, v129, 0xbeedf032, v167
	v_fmac_f32_e32 v167, 0x3eedf032, v129
	v_fmamk_f32 v216, v127, 0x3df6dbef, v168
	v_fmamk_f32 v217, v129, 0x3f7e222b, v169
	v_fmac_f32_e32 v169, 0xbf7e222b, v129
	v_fmamk_f32 v218, v127, 0xbf788fa5, v170
	v_fmamk_f32 v219, v129, 0xbe750f2a, v171
	v_fmac_f32_e32 v171, 0x3e750f2a, v129
	v_fmamk_f32 v220, v127, 0x3f116cb1, v130
	v_add_f32_e32 v140, v150, v140
	v_add_f32_e32 v60, v114, v60
	v_add_f32_e32 v61, v120, v61
	v_add_f32_e32 v65, v121, v65
	v_add_f32_e32 v66, v122, v66
	v_add_f32_e32 v67, v152, v67
	v_add_f32_e32 v71, v153, v71
	v_add_f32_e32 v99, v202, v99
	v_add_f32_e32 v100, v203, v100
	v_add_f32_e32 v111, v154, v111
	v_add_f32_e32 v112, v155, v112
	v_add_f32_e32 v114, v204, v116
	v_add_f32_e32 v116, v205, v117
	v_add_f32_e32 v117, v156, v118
	v_add_f32_e32 v118, v157, v119
	v_add_f32_e32 v119, v206, v134
	v_add_f32_e32 v120, v207, v135
	v_add_f32_e32 v122, v159, v137
	v_add_f32_e32 v134, v208, v138
	v_add_f32_e32 v135, v209, v139
	v_add_f32_e32 v137, v161, v141
	v_add_f32_e32 v138, v210, v142
	v_add_f32_e32 v52, v52, v54
	v_add_f32_e32 v53, v53, v55
	v_fma_f32 v166, 0x3f62ad3f, v127, -v166
	v_fma_f32 v168, 0x3df6dbef, v127, -v168
	;; [unrolled: 1-line block ×3, first 2 shown]
	v_fmamk_f32 v221, v129, 0xbf52af12, v128
	v_fma_f32 v127, 0x3f116cb1, v127, -v130
	v_fmac_f32_e32 v128, 0x3f52af12, v129
	v_fmamk_f32 v129, v62, 0xbf3f9e67, v172
	v_fmamk_f32 v130, v132, 0x3f29c268, v173
	v_fma_f32 v172, 0xbf3f9e67, v62, -v172
	v_fmac_f32_e32 v173, 0xbf29c268, v132
	v_fmamk_f32 v222, v62, 0x3df6dbef, v174
	;; [unrolled: 4-line block ×3, first 2 shown]
	v_fmamk_f32 v225, v132, 0x3f52af12, v177
	v_fmac_f32_e32 v177, 0xbf52af12, v132
	v_fmamk_f32 v226, v62, 0xbf788fa5, v178
	v_fmamk_f32 v227, v132, 0xbe750f2a, v179
	v_fmac_f32_e32 v179, 0x3e750f2a, v132
	v_fmamk_f32 v228, v62, 0x3f62ad3f, v180
	v_fmamk_f32 v229, v132, 0xbeedf032, v181
	v_fmac_f32_e32 v181, 0x3eedf032, v132
	v_add_f32_e32 v121, v158, v136
	v_add_f32_e32 v136, v160, v140
	;; [unrolled: 1-line block ×24, first 2 shown]
	v_fmamk_f32 v52, v62, 0xbeb58ec6, v133
	v_mul_f32_e32 v53, 0xbeb58ec6, v131
	v_fma_f32 v176, 0x3f116cb1, v62, -v176
	v_fma_f32 v178, 0xbf788fa5, v62, -v178
	;; [unrolled: 1-line block ×3, first 2 shown]
	v_add_f32_e32 v143, v201, v189
	v_add_f32_e32 v117, v166, v117
	;; [unrolled: 1-line block ×21, first 2 shown]
	v_sub_f32_e32 v122, v49, v51
	v_add_f32_e32 v123, v181, v126
	v_add_f32_e32 v124, v52, v134
	v_fmamk_f32 v52, v132, 0x3f6f5d39, v53
	v_add_f32_e32 v126, v51, v49
	v_fmac_f32_e32 v53, 0xbf6f5d39, v132
	v_add_f32_e32 v139, v211, v143
	v_add_f32_e32 v60, v127, v60
	;; [unrolled: 1-line block ×6, first 2 shown]
	v_mul_f32_e32 v54, 0xbe750f2a, v122
	v_fma_f32 v49, 0xbeb58ec6, v62, -v133
	v_sub_f32_e32 v127, v48, v50
	v_mul_f32_e32 v51, 0xbf788fa5, v126
	v_add_f32_e32 v130, v53, v61
	v_mul_f32_e32 v53, 0x3eedf032, v122
	v_mul_f32_e32 v55, 0x3f62ad3f, v126
	;; [unrolled: 1-line block ×3, first 2 shown]
	v_add_f32_e32 v135, v221, v139
	v_fmamk_f32 v48, v125, 0xbf788fa5, v54
	v_add_f32_e32 v129, v49, v60
	v_fmamk_f32 v49, v127, 0x3e750f2a, v51
	v_fma_f32 v50, 0xbf788fa5, v125, -v54
	v_fmamk_f32 v54, v127, 0xbeedf032, v55
	v_fma_f32 v56, 0x3f62ad3f, v125, -v53
	v_fmamk_f32 v60, v125, 0xbf3f9e67, v57
	v_mul_f32_e32 v61, 0xbf3f9e67, v126
	v_mul_f32_e32 v62, 0x3f52af12, v122
	v_add_f32_e32 v128, v52, v135
	v_add_f32_e32 v49, v49, v64
	v_fmamk_f32 v52, v125, 0x3f62ad3f, v53
	v_add_f32_e32 v53, v54, v71
	v_add_f32_e32 v54, v56, v99
	;; [unrolled: 1-line block ×3, first 2 shown]
	v_fmamk_f32 v60, v127, 0x3f29c268, v61
	v_fmamk_f32 v64, v125, 0x3f116cb1, v62
	v_add_f32_e32 v48, v48, v63
	v_add_f32_e32 v50, v50, v65
	v_fma_f32 v63, 0xbf3f9e67, v125, -v57
	v_fmac_f32_e32 v61, 0xbf29c268, v127
	v_mul_f32_e32 v65, 0x3f116cb1, v126
	v_fmac_f32_e32 v51, 0xbe750f2a, v127
	v_add_f32_e32 v57, v60, v58
	v_add_f32_e32 v60, v64, v114
	v_mul_f32_e32 v64, 0xbf6f5d39, v122
	v_add_f32_e32 v52, v52, v67
	v_add_f32_e32 v58, v63, v59
	;; [unrolled: 1-line block ×3, first 2 shown]
	v_fmamk_f32 v61, v127, 0xbf52af12, v65
	v_fmac_f32_e32 v65, 0x3f52af12, v127
	v_mul_f32_e32 v67, 0xbeb58ec6, v126
	v_add_f32_e32 v51, v51, v66
	v_fmac_f32_e32 v55, 0x3eedf032, v127
	v_fmamk_f32 v66, v125, 0xbeb58ec6, v64
	v_fma_f32 v71, 0xbeb58ec6, v125, -v64
	v_mul_f32_e32 v99, 0x3f7e222b, v122
	v_mul_f32_e32 v112, 0x3df6dbef, v126
	v_add_f32_e32 v63, v65, v118
	v_fmamk_f32 v65, v127, 0x3f6f5d39, v67
	v_add_f32_e32 v55, v55, v100
	v_add_f32_e32 v64, v66, v119
	;; [unrolled: 1-line block ×3, first 2 shown]
	v_fmamk_f32 v71, v125, 0x3df6dbef, v99
	v_fmamk_f32 v100, v127, 0xbf7e222b, v112
	v_fma_f32 v111, 0x3df6dbef, v125, -v99
	v_fmac_f32_e32 v112, 0x3f7e222b, v127
	v_fma_f32 v62, 0x3f116cb1, v125, -v62
	v_fmac_f32_e32 v67, 0xbf6f5d39, v127
	v_add_f32_e32 v61, v61, v116
	v_add_f32_e32 v65, v65, v120
	;; [unrolled: 1-line block ×8, first 2 shown]
	ds_write2_b64 v115, v[40:41], v[48:49] offset1:1
	ds_write2_b64 v115, v[52:53], v[56:57] offset0:2 offset1:3
	ds_write2_b64 v115, v[60:61], v[64:65] offset0:4 offset1:5
	ds_write2_b64 v115, v[99:100], v[111:112] offset0:6 offset1:7
	ds_write2_b64 v115, v[66:67], v[62:63] offset0:8 offset1:9
	ds_write2_b64 v115, v[58:59], v[54:55] offset0:10 offset1:11
	ds_write_b64 v115, v[50:51] offset:96
	s_waitcnt lgkmcnt(0)
	s_barrier
	buffer_gl0_inv
	ds_read2_b64 v[48:51], v109 offset1:52
	ds_read2_b64 v[52:55], v109 offset0:104 offset1:156
	ds_read2_b64 v[56:59], v68 offset0:80 offset1:132
	;; [unrolled: 1-line block ×5, first 2 shown]
	ds_read_b64 v[40:41], v109 offset:4992
	s_waitcnt lgkmcnt(0)
	s_barrier
	buffer_gl0_inv
	v_mul_f32_e32 v71, v21, v51
	v_mul_f32_e32 v21, v21, v50
	;; [unrolled: 1-line block ×4, first 2 shown]
	v_fmac_f32_e32 v71, v20, v50
	v_mul_f32_e32 v50, v17, v55
	v_fma_f32 v20, v20, v51, -v21
	v_fmac_f32_e32 v99, v22, v52
	v_fma_f32 v21, v22, v53, -v23
	v_mul_f32_e32 v22, v17, v54
	v_mul_f32_e32 v23, v19, v57
	;; [unrolled: 1-line block ×3, first 2 shown]
	v_fmac_f32_e32 v50, v16, v54
	v_mul_f32_e32 v17, v5, v59
	v_fma_f32 v22, v16, v55, -v22
	v_mul_f32_e32 v16, v5, v58
	v_fmac_f32_e32 v23, v18, v56
	v_fma_f32 v18, v18, v57, -v19
	v_mul_f32_e32 v5, v7, v61
	v_mul_f32_e32 v7, v7, v60
	v_add_f32_e32 v19, v48, v71
	v_add_f32_e32 v51, v49, v20
	v_fmac_f32_e32 v17, v4, v58
	v_fmac_f32_e32 v5, v6, v60
	v_fma_f32 v6, v6, v61, -v7
	v_add_f32_e32 v7, v19, v99
	v_add_f32_e32 v19, v51, v21
	v_fma_f32 v16, v4, v59, -v16
	v_mul_f32_e32 v4, v1, v63
	v_mul_f32_e32 v1, v1, v62
	v_add_f32_e32 v52, v7, v50
	v_add_f32_e32 v19, v19, v22
	v_mul_f32_e32 v51, v3, v65
	v_fmac_f32_e32 v4, v0, v62
	v_fma_f32 v7, v0, v63, -v1
	v_mul_f32_e32 v0, v3, v64
	v_add_f32_e32 v1, v52, v23
	v_add_f32_e32 v3, v19, v18
	v_fmac_f32_e32 v51, v2, v64
	v_mul_f32_e32 v19, v13, v67
	v_fma_f32 v2, v2, v65, -v0
	v_mul_f32_e32 v0, v13, v66
	v_add_f32_e32 v1, v1, v17
	v_add_f32_e32 v3, v3, v16
	v_fmac_f32_e32 v19, v12, v66
	v_mul_f32_e32 v13, v15, v115
	v_fma_f32 v12, v12, v67, -v0
	v_add_f32_e32 v0, v1, v5
	v_add_f32_e32 v1, v3, v6
	v_mul_f32_e32 v3, v15, v114
	v_fmac_f32_e32 v13, v14, v114
	v_mul_f32_e32 v15, v9, v117
	v_add_f32_e32 v0, v0, v4
	v_add_f32_e32 v1, v1, v7
	v_fma_f32 v3, v14, v115, -v3
	v_mul_f32_e32 v14, v11, v40
	v_mul_f32_e32 v11, v11, v41
	v_add_f32_e32 v0, v0, v51
	v_add_f32_e32 v1, v1, v2
	v_mul_f32_e32 v9, v9, v116
	v_fma_f32 v14, v10, v41, -v14
	v_fmac_f32_e32 v11, v10, v40
	v_add_f32_e32 v0, v0, v19
	v_fmac_f32_e32 v15, v8, v116
	v_add_f32_e32 v1, v1, v12
	v_sub_f32_e32 v10, v20, v14
	v_fma_f32 v8, v8, v117, -v9
	v_add_f32_e32 v0, v0, v13
	v_add_f32_e32 v9, v71, v11
	;; [unrolled: 1-line block ×3, first 2 shown]
	v_mul_f32_e32 v40, 0xbeedf032, v10
	v_add_f32_e32 v20, v20, v14
	v_add_f32_e32 v0, v0, v15
	v_sub_f32_e32 v111, v21, v8
	v_add_f32_e32 v1, v1, v8
	v_fmamk_f32 v52, v9, 0x3f62ad3f, v40
	v_sub_f32_e32 v41, v71, v11
	v_mul_f32_e32 v53, 0x3f62ad3f, v20
	v_add_f32_e32 v0, v0, v11
	v_mul_f32_e32 v54, 0x3f116cb1, v20
	v_add_f32_e32 v11, v48, v52
	v_mul_f32_e32 v52, 0xbf52af12, v10
	v_mul_f32_e32 v57, 0xbf7e222b, v10
	;; [unrolled: 1-line block ×9, first 2 shown]
	v_add_f32_e32 v114, v99, v15
	v_mul_f32_e32 v115, 0xbf52af12, v111
	v_add_f32_e32 v8, v21, v8
	v_add_f32_e32 v1, v1, v14
	v_fmamk_f32 v14, v41, 0x3eedf032, v53
	v_fma_f32 v40, 0x3f62ad3f, v9, -v40
	v_fmac_f32_e32 v53, 0xbeedf032, v41
	v_fmamk_f32 v55, v9, 0x3f116cb1, v52
	v_fmamk_f32 v56, v41, 0x3f52af12, v54
	v_fma_f32 v52, 0x3f116cb1, v9, -v52
	v_fmac_f32_e32 v54, 0xbf52af12, v41
	v_fmamk_f32 v58, v9, 0x3df6dbef, v57
	;; [unrolled: 4-line block ×5, first 2 shown]
	v_fmamk_f32 v112, v41, 0x3e750f2a, v20
	v_fma_f32 v9, 0xbf788fa5, v9, -v10
	v_fmac_f32_e32 v20, 0xbe750f2a, v41
	v_sub_f32_e32 v10, v99, v15
	v_fmamk_f32 v15, v114, 0x3f116cb1, v115
	v_mul_f32_e32 v21, 0x3f116cb1, v8
	v_add_f32_e32 v14, v49, v14
	v_add_f32_e32 v40, v48, v40
	;; [unrolled: 1-line block ×24, first 2 shown]
	v_fmamk_f32 v15, v10, 0x3f52af12, v21
	v_mul_f32_e32 v48, 0xbf6f5d39, v111
	v_fma_f32 v49, 0x3f116cb1, v114, -v115
	v_fmac_f32_e32 v21, 0xbf52af12, v10
	v_mul_f32_e32 v99, 0xbeb58ec6, v8
	v_add_f32_e32 v14, v15, v14
	v_fmamk_f32 v15, v114, 0xbeb58ec6, v48
	v_add_f32_e32 v40, v49, v40
	v_add_f32_e32 v21, v21, v53
	v_fmamk_f32 v49, v10, 0x3f6f5d39, v99
	v_mul_f32_e32 v53, 0xbe750f2a, v111
	v_add_f32_e32 v15, v15, v55
	v_fma_f32 v48, 0xbeb58ec6, v114, -v48
	v_fmac_f32_e32 v99, 0xbf6f5d39, v10
	v_add_f32_e32 v49, v49, v56
	v_fmamk_f32 v55, v114, 0xbf788fa5, v53
	v_mul_f32_e32 v56, 0xbf788fa5, v8
	v_add_f32_e32 v48, v48, v52
	v_add_f32_e32 v52, v99, v54
	v_mul_f32_e32 v54, 0x3f29c268, v111
	v_add_f32_e32 v55, v55, v58
	v_fmamk_f32 v58, v10, 0x3e750f2a, v56
	v_fmac_f32_e32 v56, 0xbe750f2a, v10
	v_mul_f32_e32 v112, 0xbf3f9e67, v8
	v_fma_f32 v53, 0xbf788fa5, v114, -v53
	v_fmamk_f32 v99, v114, 0xbf3f9e67, v54
	v_add_f32_e32 v58, v58, v61
	v_add_f32_e32 v56, v56, v59
	v_fmamk_f32 v59, v10, 0xbf29c268, v112
	v_mul_f32_e32 v61, 0x3f7e222b, v111
	v_add_f32_e32 v53, v53, v57
	v_add_f32_e32 v57, v99, v62
	v_fma_f32 v54, 0xbf3f9e67, v114, -v54
	v_mul_f32_e32 v62, 0x3df6dbef, v8
	v_add_f32_e32 v59, v59, v64
	v_fmamk_f32 v64, v114, 0x3df6dbef, v61
	v_mul_f32_e32 v99, 0x3eedf032, v111
	v_fma_f32 v61, 0x3df6dbef, v114, -v61
	v_add_f32_e32 v54, v54, v60
	v_fmamk_f32 v60, v10, 0xbf7e222b, v62
	v_add_f32_e32 v64, v64, v67
	v_fmac_f32_e32 v62, 0x3f7e222b, v10
	v_fmamk_f32 v67, v114, 0x3f62ad3f, v99
	v_add_f32_e32 v61, v61, v65
	v_sub_f32_e32 v65, v22, v3
	v_add_f32_e32 v60, v60, v71
	v_mul_f32_e32 v8, 0x3f62ad3f, v8
	v_add_f32_e32 v62, v62, v66
	v_add_f32_e32 v66, v67, v100
	v_add_f32_e32 v71, v50, v13
	v_mul_f32_e32 v100, 0xbf7e222b, v65
	v_add_f32_e32 v3, v22, v3
	v_fmac_f32_e32 v112, 0x3f29c268, v10
	v_fmamk_f32 v67, v10, 0xbeedf032, v8
	v_fmac_f32_e32 v8, 0x3eedf032, v10
	v_sub_f32_e32 v10, v50, v13
	v_fmamk_f32 v13, v71, 0x3df6dbef, v100
	v_mul_f32_e32 v50, 0x3df6dbef, v3
	v_fma_f32 v22, 0x3f62ad3f, v114, -v99
	v_add_f32_e32 v8, v8, v20
	v_mul_f32_e32 v20, 0xbe750f2a, v65
	v_add_f32_e32 v11, v13, v11
	v_fmamk_f32 v13, v10, 0x3f7e222b, v50
	v_add_f32_e32 v41, v67, v41
	v_add_f32_e32 v9, v22, v9
	v_fma_f32 v22, 0x3df6dbef, v71, -v100
	v_fmac_f32_e32 v50, 0xbf7e222b, v10
	v_mul_f32_e32 v67, 0xbf788fa5, v3
	v_add_f32_e32 v13, v13, v14
	v_fmamk_f32 v14, v71, 0xbf788fa5, v20
	v_add_f32_e32 v22, v22, v40
	v_add_f32_e32 v21, v50, v21
	v_fmamk_f32 v40, v10, 0x3e750f2a, v67
	v_mul_f32_e32 v50, 0x3f6f5d39, v65
	v_add_f32_e32 v14, v14, v15
	v_fma_f32 v15, 0xbf788fa5, v71, -v20
	v_fmac_f32_e32 v67, 0xbe750f2a, v10
	v_add_f32_e32 v20, v40, v49
	v_fmamk_f32 v40, v71, 0xbeb58ec6, v50
	v_mul_f32_e32 v49, 0xbeb58ec6, v3
	v_add_f32_e32 v15, v15, v48
	v_add_f32_e32 v48, v67, v52
	v_mul_f32_e32 v52, 0x3eedf032, v65
	v_add_f32_e32 v40, v40, v55
	v_fmamk_f32 v55, v10, 0xbf6f5d39, v49
	v_fma_f32 v50, 0xbeb58ec6, v71, -v50
	v_fmac_f32_e32 v49, 0x3f6f5d39, v10
	v_fmamk_f32 v67, v71, 0x3f62ad3f, v52
	v_mul_f32_e32 v99, 0x3f62ad3f, v3
	v_add_f32_e32 v55, v55, v58
	v_add_f32_e32 v50, v50, v53
	;; [unrolled: 1-line block ×4, first 2 shown]
	v_fmamk_f32 v56, v10, 0xbeedf032, v99
	v_mul_f32_e32 v57, 0xbf52af12, v65
	v_fma_f32 v52, 0x3f62ad3f, v71, -v52
	v_mul_f32_e32 v58, 0x3f116cb1, v3
	v_mul_f32_e32 v65, 0xbf29c268, v65
	v_add_f32_e32 v56, v56, v59
	v_fmamk_f32 v59, v71, 0x3f116cb1, v57
	v_add_f32_e32 v52, v52, v54
	v_fmamk_f32 v54, v10, 0x3f52af12, v58
	v_fma_f32 v57, 0x3f116cb1, v71, -v57
	v_fmac_f32_e32 v58, 0xbf52af12, v10
	v_add_f32_e32 v59, v59, v64
	v_mul_f32_e32 v3, 0xbf3f9e67, v3
	v_add_f32_e32 v54, v54, v60
	v_fmamk_f32 v60, v71, 0xbf3f9e67, v65
	v_add_f32_e32 v57, v57, v61
	v_sub_f32_e32 v61, v18, v12
	v_add_f32_e32 v64, v23, v19
	v_add_f32_e32 v12, v18, v12
	;; [unrolled: 1-line block ×3, first 2 shown]
	v_fmac_f32_e32 v99, 0x3eedf032, v10
	v_mul_f32_e32 v66, 0xbf6f5d39, v61
	v_add_f32_e32 v58, v58, v62
	v_fmamk_f32 v62, v10, 0x3f29c268, v3
	v_fma_f32 v18, 0xbf3f9e67, v71, -v65
	v_fmac_f32_e32 v3, 0xbf29c268, v10
	v_sub_f32_e32 v10, v23, v19
	v_fmamk_f32 v19, v64, 0xbeb58ec6, v66
	v_mul_f32_e32 v23, 0xbeb58ec6, v12
	v_add_f32_e32 v9, v18, v9
	v_add_f32_e32 v3, v3, v8
	v_mul_f32_e32 v18, 0x3f29c268, v61
	v_add_f32_e32 v8, v19, v11
	v_fmamk_f32 v11, v10, 0x3f6f5d39, v23
	v_add_f32_e32 v41, v62, v41
	v_fma_f32 v19, 0xbeb58ec6, v64, -v66
	v_fmac_f32_e32 v23, 0xbf6f5d39, v10
	v_mul_f32_e32 v62, 0xbf3f9e67, v12
	v_add_f32_e32 v11, v11, v13
	v_fmamk_f32 v13, v64, 0xbf3f9e67, v18
	v_add_f32_e32 v19, v19, v22
	v_add_f32_e32 v21, v23, v21
	v_fmamk_f32 v22, v10, 0xbf29c268, v62
	v_mul_f32_e32 v23, 0x3eedf032, v61
	v_add_f32_e32 v13, v13, v14
	v_fma_f32 v14, 0xbf3f9e67, v64, -v18
	v_fmac_f32_e32 v62, 0x3f29c268, v10
	v_add_f32_e32 v18, v22, v20
	v_fmamk_f32 v20, v64, 0x3f62ad3f, v23
	v_mul_f32_e32 v22, 0x3f62ad3f, v12
	v_add_f32_e32 v14, v14, v15
	v_add_f32_e32 v15, v62, v48
	v_mul_f32_e32 v48, 0xbf7e222b, v61
	v_add_f32_e32 v20, v20, v40
	v_fmamk_f32 v40, v10, 0xbeedf032, v22
	v_fma_f32 v23, 0x3f62ad3f, v64, -v23
	v_fmac_f32_e32 v22, 0x3eedf032, v10
	v_fmamk_f32 v62, v64, 0x3df6dbef, v48
	v_mul_f32_e32 v65, 0x3df6dbef, v12
	v_add_f32_e32 v40, v40, v55
	v_add_f32_e32 v23, v23, v50
	v_add_f32_e32 v22, v22, v49
	v_add_f32_e32 v49, v62, v53
	v_fmamk_f32 v50, v10, 0x3f7e222b, v65
	v_mul_f32_e32 v53, 0x3e750f2a, v61
	v_fma_f32 v48, 0x3df6dbef, v64, -v48
	v_mul_f32_e32 v55, 0xbf788fa5, v12
	v_mul_f32_e32 v61, 0x3f52af12, v61
	v_add_f32_e32 v50, v50, v56
	v_fmamk_f32 v56, v64, 0xbf788fa5, v53
	v_add_f32_e32 v48, v48, v52
	v_fmamk_f32 v52, v10, 0xbe750f2a, v55
	v_fma_f32 v53, 0xbf788fa5, v64, -v53
	v_fmac_f32_e32 v55, 0x3e750f2a, v10
	v_mul_f32_e32 v12, 0x3f116cb1, v12
	v_fmac_f32_e32 v65, 0xbf7e222b, v10
	v_add_f32_e32 v52, v52, v54
	v_fmamk_f32 v54, v64, 0x3f116cb1, v61
	v_add_f32_e32 v53, v53, v57
	v_sub_f32_e32 v57, v16, v2
	v_add_f32_e32 v2, v16, v2
	v_add_f32_e32 v56, v56, v59
	;; [unrolled: 1-line block ×4, first 2 shown]
	v_fmamk_f32 v58, v10, 0xbf52af12, v12
	v_add_f32_e32 v59, v17, v51
	v_mul_f32_e32 v60, 0xbf29c268, v57
	v_fma_f32 v16, 0x3f116cb1, v64, -v61
	v_fmac_f32_e32 v12, 0x3f52af12, v10
	v_sub_f32_e32 v10, v17, v51
	v_mul_f32_e32 v51, 0xbf3f9e67, v2
	v_fmamk_f32 v17, v59, 0xbf3f9e67, v60
	v_add_f32_e32 v9, v16, v9
	v_add_f32_e32 v3, v12, v3
	v_mul_f32_e32 v16, 0x3f7e222b, v57
	v_fmamk_f32 v12, v10, 0x3f29c268, v51
	v_add_f32_e32 v41, v58, v41
	v_add_f32_e32 v8, v17, v8
	v_fma_f32 v17, 0xbf3f9e67, v59, -v60
	v_fmac_f32_e32 v51, 0xbf29c268, v10
	v_mul_f32_e32 v58, 0x3df6dbef, v2
	v_add_f32_e32 v11, v12, v11
	v_fmamk_f32 v12, v59, 0x3df6dbef, v16
	v_add_f32_e32 v17, v17, v19
	v_add_f32_e32 v19, v51, v21
	v_fmamk_f32 v21, v10, 0xbf7e222b, v58
	v_mul_f32_e32 v51, 0xbf52af12, v57
	v_add_f32_e32 v12, v12, v13
	v_fma_f32 v13, 0x3df6dbef, v59, -v16
	v_fmac_f32_e32 v58, 0x3f7e222b, v10
	v_add_f32_e32 v16, v21, v18
	v_fmamk_f32 v18, v59, 0x3f116cb1, v51
	v_mul_f32_e32 v21, 0x3f116cb1, v2
	v_add_f32_e32 v13, v13, v14
	v_add_f32_e32 v14, v58, v15
	v_mul_f32_e32 v15, 0x3e750f2a, v57
	v_add_f32_e32 v18, v18, v20
	v_fmamk_f32 v20, v10, 0x3f52af12, v21
	v_fmac_f32_e32 v21, 0xbf52af12, v10
	v_mul_f32_e32 v60, 0xbf788fa5, v2
	v_fmamk_f32 v58, v59, 0xbf788fa5, v15
	v_fma_f32 v51, 0x3f116cb1, v59, -v51
	v_add_f32_e32 v20, v20, v40
	v_add_f32_e32 v21, v21, v22
	v_fmamk_f32 v40, v10, 0xbe750f2a, v60
	v_add_f32_e32 v22, v58, v49
	v_mul_f32_e32 v49, 0x3eedf032, v57
	v_add_f32_e32 v63, v112, v63
	v_add_f32_e32 v23, v51, v23
	v_fma_f32 v15, 0xbf788fa5, v59, -v15
	v_mul_f32_e32 v51, 0x3f62ad3f, v2
	v_add_f32_e32 v50, v40, v50
	v_fmamk_f32 v40, v59, 0x3f62ad3f, v49
	v_add_f32_e32 v63, v99, v63
	v_add_f32_e32 v15, v15, v48
	v_fmamk_f32 v48, v10, 0xbeedf032, v51
	v_mul_f32_e32 v57, 0xbf6f5d39, v57
	v_add_f32_e32 v56, v40, v56
	v_fma_f32 v40, 0x3f62ad3f, v59, -v49
	v_add_f32_e32 v62, v65, v63
	v_fmac_f32_e32 v60, 0x3e750f2a, v10
	v_add_f32_e32 v48, v48, v52
	v_fmac_f32_e32 v51, 0x3eedf032, v10
	v_fmamk_f32 v49, v59, 0xbeb58ec6, v57
	v_add_f32_e32 v52, v40, v53
	v_sub_f32_e32 v53, v6, v7
	v_add_f32_e32 v58, v60, v62
	v_mul_f32_e32 v2, 0xbeb58ec6, v2
	v_add_f32_e32 v51, v51, v55
	v_add_f32_e32 v49, v49, v54
	;; [unrolled: 1-line block ×3, first 2 shown]
	v_mul_f32_e32 v55, 0xbe750f2a, v53
	v_add_f32_e32 v60, v6, v7
	v_fma_f32 v6, 0xbeb58ec6, v59, -v57
	v_fmamk_f32 v40, v10, 0x3f6f5d39, v2
	v_fmac_f32_e32 v2, 0xbf6f5d39, v10
	v_sub_f32_e32 v57, v5, v4
	v_fmamk_f32 v4, v54, 0xbf788fa5, v55
	v_mul_f32_e32 v5, 0xbf788fa5, v60
	v_add_f32_e32 v61, v6, v9
	v_mul_f32_e32 v6, 0x3eedf032, v53
	v_add_f32_e32 v62, v2, v3
	v_add_f32_e32 v2, v4, v8
	v_fmamk_f32 v3, v57, 0x3e750f2a, v5
	v_fmac_f32_e32 v5, 0xbe750f2a, v57
	v_mul_f32_e32 v7, 0x3f62ad3f, v60
	v_fmamk_f32 v8, v54, 0x3f62ad3f, v6
	v_fma_f32 v6, 0x3f62ad3f, v54, -v6
	v_add_f32_e32 v59, v40, v41
	v_fma_f32 v4, 0xbf788fa5, v54, -v55
	v_add_f32_e32 v3, v3, v11
	v_add_f32_e32 v41, v5, v19
	v_fmamk_f32 v5, v57, 0xbeedf032, v7
	v_mul_f32_e32 v9, 0xbf29c268, v53
	v_fmac_f32_e32 v7, 0x3eedf032, v57
	v_mul_f32_e32 v11, 0xbf3f9e67, v60
	v_add_f32_e32 v6, v6, v13
	v_mul_f32_e32 v13, 0x3f52af12, v53
	v_add_f32_e32 v40, v4, v17
	v_add_f32_e32 v4, v8, v12
	;; [unrolled: 1-line block ×3, first 2 shown]
	v_fmamk_f32 v8, v54, 0xbf3f9e67, v9
	v_add_f32_e32 v7, v7, v14
	v_fmamk_f32 v10, v57, 0x3f29c268, v11
	v_fma_f32 v12, 0xbf3f9e67, v54, -v9
	v_fmamk_f32 v14, v54, 0x3f116cb1, v13
	v_mul_f32_e32 v16, 0x3f116cb1, v60
	v_mul_f32_e32 v17, 0xbf6f5d39, v53
	v_add_f32_e32 v8, v8, v18
	v_fmac_f32_e32 v11, 0xbf29c268, v57
	v_add_f32_e32 v9, v10, v20
	v_add_f32_e32 v10, v12, v23
	;; [unrolled: 1-line block ×3, first 2 shown]
	v_fmamk_f32 v14, v57, 0xbf52af12, v16
	v_fma_f32 v18, 0x3f116cb1, v54, -v13
	v_fmac_f32_e32 v16, 0x3f52af12, v57
	v_mul_f32_e32 v19, 0xbeb58ec6, v60
	v_fmamk_f32 v20, v54, 0xbeb58ec6, v17
	v_add_f32_e32 v11, v11, v21
	v_add_f32_e32 v13, v14, v50
	;; [unrolled: 1-line block ×4, first 2 shown]
	v_fmamk_f32 v18, v57, 0x3f6f5d39, v19
	v_fma_f32 v21, 0xbeb58ec6, v54, -v17
	v_add_f32_e32 v16, v20, v56
	v_mul_f32_e32 v20, 0x3f7e222b, v53
	v_mul_f32_e32 v23, 0x3df6dbef, v60
	v_add_f32_e32 v17, v18, v48
	v_add_f32_e32 v18, v21, v52
	v_fmac_f32_e32 v19, 0xbf6f5d39, v57
	v_fmamk_f32 v21, v54, 0x3df6dbef, v20
	v_fmamk_f32 v22, v57, 0xbf7e222b, v23
	v_fma_f32 v48, 0x3df6dbef, v54, -v20
	v_fmac_f32_e32 v23, 0x3f7e222b, v57
	v_add_f32_e32 v19, v19, v51
	v_add_f32_e32 v20, v21, v49
	;; [unrolled: 1-line block ×5, first 2 shown]
	ds_write2_b64 v113, v[0:1], v[2:3] offset1:13
	ds_write2_b64 v113, v[4:5], v[8:9] offset0:26 offset1:39
	ds_write2_b64 v113, v[12:13], v[16:17] offset0:52 offset1:65
	ds_write2_b64 v113, v[20:21], v[22:23] offset0:78 offset1:91
	ds_write2_b64 v113, v[18:19], v[14:15] offset0:104 offset1:117
	ds_write2_b64 v113, v[10:11], v[6:7] offset0:130 offset1:143
	ds_write_b64 v113, v[40:41] offset:1248
	s_waitcnt lgkmcnt(0)
	s_barrier
	buffer_gl0_inv
	ds_read2_b64 v[4:7], v109 offset1:52
	ds_read2_b64 v[0:3], v109 offset0:104 offset1:169
	ds_read2_b64 v[20:23], v70 offset0:82 offset1:134
	;; [unrolled: 1-line block ×5, first 2 shown]
	s_and_saveexec_b32 s0, vcc_lo
	s_cbranch_execz .LBB0_7
; %bb.6:
	v_add_nc_u32_e32 v44, 0xe00, v109
	ds_read2_b64 v[40:43], v68 offset0:28 offset1:197
	ds_read2_b64 v[44:47], v44 offset0:46 offset1:215
.LBB0_7:
	s_or_b32 exec_lo, exec_lo, s0
	s_waitcnt lgkmcnt(4)
	v_mul_f32_e32 v48, v29, v3
	v_mul_f32_e32 v29, v29, v2
	s_waitcnt lgkmcnt(3)
	v_mul_f32_e32 v49, v31, v21
	v_mul_f32_e32 v31, v31, v20
	s_waitcnt lgkmcnt(2)
	v_mul_f32_e32 v50, v104, v15
	v_fmac_f32_e32 v48, v28, v2
	v_mul_f32_e32 v2, v104, v14
	v_fma_f32 v3, v28, v3, -v29
	v_fmac_f32_e32 v49, v30, v20
	v_fma_f32 v20, v30, v21, -v31
	v_fmac_f32_e32 v50, v103, v14
	v_fma_f32 v2, v103, v15, -v2
	s_waitcnt lgkmcnt(1)
	v_mul_f32_e32 v14, v37, v17
	v_mul_f32_e32 v15, v37, v16
	;; [unrolled: 1-line block ×4, first 2 shown]
	s_waitcnt lgkmcnt(0)
	v_mul_f32_e32 v29, v108, v9
	v_fmac_f32_e32 v14, v36, v16
	v_fma_f32 v15, v36, v17, -v15
	v_fmac_f32_e32 v21, v38, v22
	v_fma_f32 v16, v38, v23, -v28
	v_fmac_f32_e32 v29, v107, v8
	v_mul_f32_e32 v8, v108, v8
	v_mul_f32_e32 v17, v33, v19
	;; [unrolled: 1-line block ×5, first 2 shown]
	v_fma_f32 v8, v107, v9, -v8
	v_fmac_f32_e32 v17, v32, v18
	v_fma_f32 v18, v32, v19, -v22
	v_fma_f32 v13, v34, v13, -v28
	v_sub_f32_e32 v9, v48, v50
	v_mul_f32_e32 v19, v106, v11
	v_sub_f32_e32 v20, v5, v20
	v_mul_f32_e32 v28, v106, v10
	v_fmac_f32_e32 v23, v34, v12
	v_sub_f32_e32 v22, v3, v2
	v_fma_f32 v2, v48, 2.0, -v9
	v_fmac_f32_e32 v19, v105, v10
	v_fma_f32 v28, v105, v11, -v28
	v_sub_f32_e32 v21, v6, v21
	v_sub_f32_e32 v29, v14, v29
	v_sub_f32_e32 v9, v20, v9
	v_sub_f32_e32 v12, v4, v49
	v_sub_f32_e32 v30, v7, v16
	v_sub_f32_e32 v31, v15, v8
	v_fma_f32 v5, v5, 2.0, -v20
	v_fma_f32 v16, v6, 2.0, -v21
	v_fma_f32 v6, v14, 2.0, -v29
	v_fma_f32 v11, v20, 2.0, -v9
	v_sub_f32_e32 v23, v0, v23
	v_sub_f32_e32 v32, v1, v13
	;; [unrolled: 1-line block ×4, first 2 shown]
	v_fma_f32 v4, v4, 2.0, -v12
	v_fma_f32 v3, v3, 2.0, -v22
	v_add_f32_e32 v8, v12, v22
	v_fma_f32 v22, v7, 2.0, -v30
	v_fma_f32 v7, v15, 2.0, -v31
	v_sub_f32_e32 v6, v16, v6
	v_add_f32_e32 v14, v21, v31
	v_fma_f32 v28, v0, 2.0, -v23
	v_fma_f32 v31, v1, 2.0, -v32
	;; [unrolled: 1-line block ×4, first 2 shown]
	v_sub_f32_e32 v2, v4, v2
	v_sub_f32_e32 v3, v5, v3
	;; [unrolled: 1-line block ×3, first 2 shown]
	v_fma_f32 v10, v12, 2.0, -v8
	v_fma_f32 v12, v16, 2.0, -v6
	v_sub_f32_e32 v15, v30, v29
	v_sub_f32_e32 v16, v28, v1
	;; [unrolled: 1-line block ×3, first 2 shown]
	v_add_f32_e32 v18, v23, v20
	v_sub_f32_e32 v19, v32, v19
	v_fma_f32 v4, v4, 2.0, -v2
	v_fma_f32 v5, v5, 2.0, -v3
	;; [unrolled: 1-line block ×9, first 2 shown]
	ds_write_b64 v109, v[10:11] offset:1352
	ds_write_b64 v109, v[2:3] offset:2704
	;; [unrolled: 1-line block ×3, first 2 shown]
	ds_write2_b64 v109, v[4:5], v[12:13] offset1:52
	ds_write_b64 v109, v[6:7] offset:3120
	ds_write_b64 v109, v[14:15] offset:4472
	;; [unrolled: 1-line block ×3, first 2 shown]
	ds_write2_b64 v68, v[0:1], v[22:23] offset0:93 offset1:145
	ds_write_b64 v109, v[16:17] offset:3536
	ds_write_b64 v109, v[18:19] offset:4888
	s_and_saveexec_b32 s0, vcc_lo
	s_cbranch_execz .LBB0_9
; %bb.8:
	v_mul_f32_e32 v0, v27, v44
	v_mul_f32_e32 v1, v25, v43
	;; [unrolled: 1-line block ×6, first 2 shown]
	v_fma_f32 v0, v26, v45, -v0
	v_fmac_f32_e32 v1, v24, v42
	v_fma_f32 v3, v24, v43, -v3
	v_fma_f32 v4, v101, v47, -v4
	v_fmac_f32_e32 v2, v26, v44
	v_fmac_f32_e32 v5, v101, v46
	v_sub_f32_e32 v6, v41, v0
	v_add_nc_u32_e32 v9, 0xe00, v109
	v_sub_f32_e32 v0, v3, v4
	v_sub_f32_e32 v4, v40, v2
	;; [unrolled: 1-line block ×3, first 2 shown]
	v_fma_f32 v7, v41, 2.0, -v6
	v_fma_f32 v3, v3, 2.0, -v0
	;; [unrolled: 1-line block ×4, first 2 shown]
	v_sub_f32_e32 v1, v6, v2
	v_add_f32_e32 v0, v4, v0
	v_sub_f32_e32 v3, v7, v3
	v_sub_f32_e32 v2, v8, v5
	v_fma_f32 v5, v6, 2.0, -v1
	v_fma_f32 v4, v4, 2.0, -v0
	;; [unrolled: 1-line block ×4, first 2 shown]
	v_add_nc_u32_e32 v8, 0x400, v109
	ds_write2_b64 v8, v[6:7], v[4:5] offset0:28 offset1:197
	ds_write2_b64 v9, v[2:3], v[0:1] offset0:46 offset1:215
.LBB0_9:
	s_or_b32 exec_lo, exec_lo, s0
	s_waitcnt lgkmcnt(0)
	s_barrier
	buffer_gl0_inv
	ds_read2_b64 v[0:3], v109 offset1:52
	ds_read2_b64 v[4:7], v109 offset0:104 offset1:156
	v_mad_u64_u32 v[12:13], null, s10, v72, 0
	v_mad_u64_u32 v[14:15], null, s8, v110, 0
	v_add_nc_u32_e32 v8, 0x400, v109
	s_mov_b32 s0, 0x7ab2bedd
	s_mov_b32 s1, 0x3f583c97
	v_add_nc_u32_e32 v30, 0x800, v109
	s_mul_i32 s2, s9, 0x1a0
	s_mul_hi_u32 s6, s8, 0x1a0
	s_mul_i32 s3, s8, 0x1a0
	s_add_i32 s2, s6, s2
	s_waitcnt lgkmcnt(1)
	v_mul_f32_e32 v9, v92, v1
	v_mul_f32_e32 v10, v92, v0
	;; [unrolled: 1-line block ×4, first 2 shown]
	s_waitcnt lgkmcnt(0)
	v_mul_f32_e32 v24, v90, v5
	v_fmac_f32_e32 v9, v91, v0
	v_fma_f32 v0, v91, v1, -v10
	v_fmac_f32_e32 v11, v93, v2
	v_fma_f32 v1, v93, v3, -v16
	v_mul_f32_e32 v2, v90, v4
	v_cvt_f64_f32_e32 v[16:17], v9
	v_cvt_f64_f32_e32 v[18:19], v0
	;; [unrolled: 1-line block ×4, first 2 shown]
	v_fmac_f32_e32 v24, v89, v4
	v_fma_f32 v9, v89, v5, -v2
	v_mov_b32_e32 v4, v13
	v_mov_b32_e32 v5, v15
	ds_read2_b64 v[0:3], v8 offset0:80 offset1:132
	v_cvt_f64_f32_e32 v[24:25], v24
	v_cvt_f64_f32_e32 v[26:27], v9
	ds_read2_b64 v[8:11], v30 offset0:56 offset1:108
	v_mad_u64_u32 v[28:29], null, s11, v72, v[4:5]
	v_mad_u64_u32 v[4:5], null, s9, v110, v[5:6]
	v_mul_f32_e32 v5, v86, v7
	v_mul_f32_e32 v29, v86, v6
	v_mov_b32_e32 v13, v28
	v_fmac_f32_e32 v5, v85, v6
	v_mul_f64 v[16:17], v[16:17], s[0:1]
	v_mul_f64 v[18:19], v[18:19], s[0:1]
	;; [unrolled: 1-line block ×4, first 2 shown]
	v_fma_f32 v28, v85, v7, -v29
	v_mov_b32_e32 v15, v4
	v_cvt_f64_f32_e32 v[4:5], v5
	s_waitcnt lgkmcnt(1)
	v_mul_f32_e32 v29, v88, v1
	v_mul_f32_e32 v31, v88, v0
	v_mul_f64 v[6:7], v[24:25], s[0:1]
	v_mul_f64 v[24:25], v[26:27], s[0:1]
	v_cvt_f64_f32_e32 v[26:27], v28
	v_fmac_f32_e32 v29, v87, v0
	v_fma_f32 v28, v87, v1, -v31
	v_lshlrev_b64 v[0:1], 3, v[12:13]
	v_lshlrev_b64 v[14:15], 3, v[14:15]
	v_mul_f32_e32 v32, v98, v3
	v_mul_f32_e32 v33, v98, v2
	s_waitcnt lgkmcnt(0)
	v_mul_f32_e32 v31, v96, v9
	v_mul_f32_e32 v34, v96, v8
	v_cvt_f64_f32_e32 v[12:13], v29
	v_fmac_f32_e32 v32, v97, v2
	v_cvt_f32_f64_e32 v16, v[16:17]
	v_cvt_f32_f64_e32 v17, v[18:19]
	;; [unrolled: 1-line block ×4, first 2 shown]
	v_add_co_u32 v20, vcc_lo, s4, v0
	v_add_co_ci_u32_e32 v21, vcc_lo, s5, v1, vcc_lo
	v_mul_f64 v[0:1], v[4:5], s[0:1]
	v_cvt_f32_f64_e32 v4, v[6:7]
	v_add_co_u32 v6, vcc_lo, v20, v14
	v_cvt_f32_f64_e32 v5, v[24:25]
	v_add_co_ci_u32_e32 v7, vcc_lo, v21, v15, vcc_lo
	v_mul_f64 v[14:15], v[26:27], s[0:1]
	v_add_co_u32 v20, vcc_lo, v6, s3
	v_add_co_ci_u32_e32 v21, vcc_lo, s2, v7, vcc_lo
	v_fma_f32 v2, v97, v3, -v33
	v_fmac_f32_e32 v31, v95, v8
	v_fma_f32 v3, v95, v9, -v34
	global_store_dwordx2 v[6:7], v[16:17], off
	global_store_dwordx2 v[20:21], v[18:19], off
	v_add_co_u32 v6, vcc_lo, v20, s3
	v_cvt_f64_f32_e32 v[28:29], v28
	v_add_co_ci_u32_e32 v7, vcc_lo, s2, v21, vcc_lo
	v_cvt_f64_f32_e32 v[20:21], v31
	v_cvt_f64_f32_e32 v[24:25], v3
	v_mul_f32_e32 v26, v80, v11
	v_cvt_f64_f32_e32 v[8:9], v2
	global_store_dwordx2 v[6:7], v[4:5], off
	v_add_nc_u32_e32 v4, 0x1000, v109
	v_cvt_f32_f64_e32 v18, v[0:1]
	v_cvt_f32_f64_e32 v19, v[14:15]
	v_add_co_u32 v14, vcc_lo, v6, s3
	v_add_co_ci_u32_e32 v15, vcc_lo, s2, v7, vcc_lo
	ds_read2_b64 v[4:7], v4 offset0:8 offset1:60
	ds_read2_b64 v[0:3], v30 offset0:160 offset1:212
	v_mul_f32_e32 v27, v80, v10
	v_fmac_f32_e32 v26, v79, v10
	v_mul_f64 v[12:13], v[12:13], s[0:1]
	v_cvt_f64_f32_e32 v[16:17], v32
	v_mul_f64 v[22:23], v[28:29], s[0:1]
	v_fma_f32 v28, v79, v11, -v27
	v_mul_f64 v[10:11], v[20:21], s[0:1]
	v_mul_f64 v[20:21], v[24:25], s[0:1]
	v_cvt_f64_f32_e32 v[24:25], v26
	ds_read_b64 v[26:27], v109 offset:4992
	v_mul_f64 v[8:9], v[8:9], s[0:1]
	v_cvt_f64_f32_e32 v[28:29], v28
	s_waitcnt lgkmcnt(2)
	v_mul_f32_e32 v34, v74, v5
	s_waitcnt lgkmcnt(1)
	v_mul_f32_e32 v30, v76, v1
	v_mul_f32_e32 v31, v76, v0
	;; [unrolled: 1-line block ×4, first 2 shown]
	v_fmac_f32_e32 v34, v73, v4
	v_mul_f32_e32 v4, v74, v4
	v_mul_f32_e32 v36, v82, v7
	;; [unrolled: 1-line block ×3, first 2 shown]
	v_fmac_f32_e32 v30, v75, v0
	v_fma_f32 v31, v75, v1, -v31
	v_cvt_f32_f64_e32 v12, v[12:13]
	v_cvt_f32_f64_e32 v13, v[22:23]
	s_waitcnt lgkmcnt(0)
	v_mul_f32_e32 v38, v84, v27
	v_mul_f32_e32 v39, v84, v26
	v_fmac_f32_e32 v32, v77, v2
	v_fma_f32 v33, v77, v3, -v33
	v_fma_f32 v4, v73, v5, -v4
	v_fmac_f32_e32 v36, v81, v6
	v_fma_f32 v37, v81, v7, -v37
	v_cvt_f64_f32_e32 v[0:1], v30
	v_cvt_f64_f32_e32 v[2:3], v31
	v_fmac_f32_e32 v38, v83, v26
	v_fma_f32 v39, v83, v27, -v39
	v_mul_f64 v[16:17], v[16:17], s[0:1]
	v_cvt_f64_f32_e32 v[30:31], v32
	v_cvt_f64_f32_e32 v[32:33], v33
	v_cvt_f64_f32_e32 v[34:35], v34
	v_cvt_f64_f32_e32 v[4:5], v4
	v_cvt_f64_f32_e32 v[6:7], v36
	v_cvt_f64_f32_e32 v[26:27], v37
	v_cvt_f64_f32_e32 v[36:37], v38
	v_cvt_f64_f32_e32 v[38:39], v39
	v_add_co_u32 v22, vcc_lo, v14, s3
	v_add_co_ci_u32_e32 v23, vcc_lo, s2, v15, vcc_lo
	global_store_dwordx2 v[14:15], v[18:19], off
	global_store_dwordx2 v[22:23], v[12:13], off
	v_cvt_f32_f64_e32 v13, v[8:9]
	v_mul_f64 v[8:9], v[24:25], s[0:1]
	v_mul_f64 v[14:15], v[28:29], s[0:1]
	;; [unrolled: 1-line block ×4, first 2 shown]
	v_cvt_f32_f64_e32 v10, v[10:11]
	v_cvt_f32_f64_e32 v12, v[16:17]
	v_add_co_u32 v16, vcc_lo, v22, s3
	v_cvt_f32_f64_e32 v11, v[20:21]
	v_mul_f64 v[18:19], v[30:31], s[0:1]
	v_mul_f64 v[20:21], v[32:33], s[0:1]
	v_add_co_ci_u32_e32 v17, vcc_lo, s2, v23, vcc_lo
	v_mul_f64 v[22:23], v[34:35], s[0:1]
	v_mul_f64 v[4:5], v[4:5], s[0:1]
	;; [unrolled: 1-line block ×6, first 2 shown]
	v_add_co_u32 v30, vcc_lo, v16, s3
	v_add_co_ci_u32_e32 v31, vcc_lo, s2, v17, vcc_lo
	v_cvt_f32_f64_e32 v8, v[8:9]
	v_cvt_f32_f64_e32 v9, v[14:15]
	v_add_co_u32 v14, vcc_lo, v30, s3
	v_add_co_ci_u32_e32 v15, vcc_lo, s2, v31, vcc_lo
	v_cvt_f32_f64_e32 v0, v[0:1]
	v_cvt_f32_f64_e32 v1, v[2:3]
	;; [unrolled: 4-line block ×3, first 2 shown]
	v_cvt_f32_f64_e32 v20, v[22:23]
	v_cvt_f32_f64_e32 v21, v[4:5]
	;; [unrolled: 1-line block ×6, first 2 shown]
	v_add_co_u32 v22, vcc_lo, v2, s3
	v_add_co_ci_u32_e32 v23, vcc_lo, s2, v3, vcc_lo
	global_store_dwordx2 v[16:17], v[12:13], off
	v_add_co_u32 v12, vcc_lo, v22, s3
	v_add_co_ci_u32_e32 v13, vcc_lo, s2, v23, vcc_lo
	global_store_dwordx2 v[30:31], v[10:11], off
	;; [unrolled: 3-line block ×4, first 2 shown]
	global_store_dwordx2 v[22:23], v[18:19], off
	global_store_dwordx2 v[12:13], v[20:21], off
	;; [unrolled: 1-line block ×4, first 2 shown]
.LBB0_10:
	s_endpgm
	.section	.rodata,"a",@progbits
	.p2align	6, 0x0
	.amdhsa_kernel bluestein_single_back_len676_dim1_sp_op_CI_CI
		.amdhsa_group_segment_fixed_size 5408
		.amdhsa_private_segment_fixed_size 0
		.amdhsa_kernarg_size 104
		.amdhsa_user_sgpr_count 6
		.amdhsa_user_sgpr_private_segment_buffer 1
		.amdhsa_user_sgpr_dispatch_ptr 0
		.amdhsa_user_sgpr_queue_ptr 0
		.amdhsa_user_sgpr_kernarg_segment_ptr 1
		.amdhsa_user_sgpr_dispatch_id 0
		.amdhsa_user_sgpr_flat_scratch_init 0
		.amdhsa_user_sgpr_private_segment_size 0
		.amdhsa_wavefront_size32 1
		.amdhsa_uses_dynamic_stack 0
		.amdhsa_system_sgpr_private_segment_wavefront_offset 0
		.amdhsa_system_sgpr_workgroup_id_x 1
		.amdhsa_system_sgpr_workgroup_id_y 0
		.amdhsa_system_sgpr_workgroup_id_z 0
		.amdhsa_system_sgpr_workgroup_info 0
		.amdhsa_system_vgpr_workitem_id 0
		.amdhsa_next_free_vgpr 230
		.amdhsa_next_free_sgpr 20
		.amdhsa_reserve_vcc 1
		.amdhsa_reserve_flat_scratch 0
		.amdhsa_float_round_mode_32 0
		.amdhsa_float_round_mode_16_64 0
		.amdhsa_float_denorm_mode_32 3
		.amdhsa_float_denorm_mode_16_64 3
		.amdhsa_dx10_clamp 1
		.amdhsa_ieee_mode 1
		.amdhsa_fp16_overflow 0
		.amdhsa_workgroup_processor_mode 1
		.amdhsa_memory_ordered 1
		.amdhsa_forward_progress 0
		.amdhsa_shared_vgpr_count 0
		.amdhsa_exception_fp_ieee_invalid_op 0
		.amdhsa_exception_fp_denorm_src 0
		.amdhsa_exception_fp_ieee_div_zero 0
		.amdhsa_exception_fp_ieee_overflow 0
		.amdhsa_exception_fp_ieee_underflow 0
		.amdhsa_exception_fp_ieee_inexact 0
		.amdhsa_exception_int_div_zero 0
	.end_amdhsa_kernel
	.text
.Lfunc_end0:
	.size	bluestein_single_back_len676_dim1_sp_op_CI_CI, .Lfunc_end0-bluestein_single_back_len676_dim1_sp_op_CI_CI
                                        ; -- End function
	.section	.AMDGPU.csdata,"",@progbits
; Kernel info:
; codeLenInByte = 16844
; NumSgprs: 22
; NumVgprs: 230
; ScratchSize: 0
; MemoryBound: 0
; FloatMode: 240
; IeeeMode: 1
; LDSByteSize: 5408 bytes/workgroup (compile time only)
; SGPRBlocks: 2
; VGPRBlocks: 28
; NumSGPRsForWavesPerEU: 22
; NumVGPRsForWavesPerEU: 230
; Occupancy: 4
; WaveLimiterHint : 1
; COMPUTE_PGM_RSRC2:SCRATCH_EN: 0
; COMPUTE_PGM_RSRC2:USER_SGPR: 6
; COMPUTE_PGM_RSRC2:TRAP_HANDLER: 0
; COMPUTE_PGM_RSRC2:TGID_X_EN: 1
; COMPUTE_PGM_RSRC2:TGID_Y_EN: 0
; COMPUTE_PGM_RSRC2:TGID_Z_EN: 0
; COMPUTE_PGM_RSRC2:TIDIG_COMP_CNT: 0
	.text
	.p2alignl 6, 3214868480
	.fill 48, 4, 3214868480
	.type	__hip_cuid_c9c3b95c3a647ba6,@object ; @__hip_cuid_c9c3b95c3a647ba6
	.section	.bss,"aw",@nobits
	.globl	__hip_cuid_c9c3b95c3a647ba6
__hip_cuid_c9c3b95c3a647ba6:
	.byte	0                               ; 0x0
	.size	__hip_cuid_c9c3b95c3a647ba6, 1

	.ident	"AMD clang version 19.0.0git (https://github.com/RadeonOpenCompute/llvm-project roc-6.4.0 25133 c7fe45cf4b819c5991fe208aaa96edf142730f1d)"
	.section	".note.GNU-stack","",@progbits
	.addrsig
	.addrsig_sym __hip_cuid_c9c3b95c3a647ba6
	.amdgpu_metadata
---
amdhsa.kernels:
  - .args:
      - .actual_access:  read_only
        .address_space:  global
        .offset:         0
        .size:           8
        .value_kind:     global_buffer
      - .actual_access:  read_only
        .address_space:  global
        .offset:         8
        .size:           8
        .value_kind:     global_buffer
      - .actual_access:  read_only
        .address_space:  global
        .offset:         16
        .size:           8
        .value_kind:     global_buffer
      - .actual_access:  read_only
        .address_space:  global
        .offset:         24
        .size:           8
        .value_kind:     global_buffer
      - .actual_access:  read_only
        .address_space:  global
        .offset:         32
        .size:           8
        .value_kind:     global_buffer
      - .offset:         40
        .size:           8
        .value_kind:     by_value
      - .address_space:  global
        .offset:         48
        .size:           8
        .value_kind:     global_buffer
      - .address_space:  global
        .offset:         56
        .size:           8
        .value_kind:     global_buffer
      - .address_space:  global
        .offset:         64
        .size:           8
        .value_kind:     global_buffer
      - .address_space:  global
        .offset:         72
        .size:           8
        .value_kind:     global_buffer
      - .offset:         80
        .size:           4
        .value_kind:     by_value
      - .address_space:  global
        .offset:         88
        .size:           8
        .value_kind:     global_buffer
      - .address_space:  global
        .offset:         96
        .size:           8
        .value_kind:     global_buffer
    .group_segment_fixed_size: 5408
    .kernarg_segment_align: 8
    .kernarg_segment_size: 104
    .language:       OpenCL C
    .language_version:
      - 2
      - 0
    .max_flat_workgroup_size: 52
    .name:           bluestein_single_back_len676_dim1_sp_op_CI_CI
    .private_segment_fixed_size: 0
    .sgpr_count:     22
    .sgpr_spill_count: 0
    .symbol:         bluestein_single_back_len676_dim1_sp_op_CI_CI.kd
    .uniform_work_group_size: 1
    .uses_dynamic_stack: false
    .vgpr_count:     230
    .vgpr_spill_count: 0
    .wavefront_size: 32
    .workgroup_processor_mode: 1
amdhsa.target:   amdgcn-amd-amdhsa--gfx1030
amdhsa.version:
  - 1
  - 2
...

	.end_amdgpu_metadata
